;; amdgpu-corpus repo=pytorch/pytorch kind=compiled arch=gfx1030 opt=O3
	.amdgcn_target "amdgcn-amd-amdhsa--gfx1030"
	.amdhsa_code_object_version 6
	.section	.text._ZN2at6native45tensor_kernel_scan_innermost_dim_with_indicesIhSt13greater_equalIhEEEvPKT_PS4_PliijjS4_T0_,"axG",@progbits,_ZN2at6native45tensor_kernel_scan_innermost_dim_with_indicesIhSt13greater_equalIhEEEvPKT_PS4_PliijjS4_T0_,comdat
	.protected	_ZN2at6native45tensor_kernel_scan_innermost_dim_with_indicesIhSt13greater_equalIhEEEvPKT_PS4_PliijjS4_T0_ ; -- Begin function _ZN2at6native45tensor_kernel_scan_innermost_dim_with_indicesIhSt13greater_equalIhEEEvPKT_PS4_PliijjS4_T0_
	.globl	_ZN2at6native45tensor_kernel_scan_innermost_dim_with_indicesIhSt13greater_equalIhEEEvPKT_PS4_PliijjS4_T0_
	.p2align	8
	.type	_ZN2at6native45tensor_kernel_scan_innermost_dim_with_indicesIhSt13greater_equalIhEEEvPKT_PS4_PliijjS4_T0_,@function
_ZN2at6native45tensor_kernel_scan_innermost_dim_with_indicesIhSt13greater_equalIhEEEvPKT_PS4_PliijjS4_T0_: ; @_ZN2at6native45tensor_kernel_scan_innermost_dim_with_indicesIhSt13greater_equalIhEEEvPKT_PS4_PliijjS4_T0_
; %bb.0:
	s_clause 0x1
	s_load_dword s2, s[4:5], 0x3c
	s_load_dwordx4 s[8:11], s[4:5], 0x18
	s_add_u32 s0, s4, 48
	s_addc_u32 s1, s5, 0
	s_waitcnt lgkmcnt(0)
	s_lshr_b32 s2, s2, 16
	s_mul_i32 s3, s6, s2
	s_cmp_ge_i32 s3, s8
	s_cbranch_scc1 .LBB0_31
; %bb.1:
	s_lshl_b32 s6, 2, s11
	s_clause 0x2
	s_load_dword s7, s[4:5], 0x28
	s_load_dwordx4 s[12:15], s[4:5], 0x0
	s_load_dwordx2 s[4:5], s[4:5], 0x10
	v_mul_lo_u32 v2, s6, v1
	s_load_dword s1, s[0:1], 0x0
	s_lshl_b32 s16, s10, 1
	s_lshl_b32 s10, 1, s11
	s_cmp_gt_i32 s9, 0
	v_add_nc_u32_e32 v8, s10, v0
	s_cselect_b32 s11, -1, 0
	v_cmp_eq_u32_e64 s0, 0, v0
	v_lshlrev_b32_e32 v3, 3, v2
	v_add_nc_u32_e32 v9, 0, v2
	v_add3_u32 v10, 0, s16, v3
	v_add_nc_u32_e32 v2, s10, v9
	s_add_i32 s16, s6, -1
	v_add_nc_u32_e32 v12, v9, v0
	v_add_nc_u32_e32 v13, v9, v8
	v_lshl_add_u32 v11, v0, 3, v10
	v_lshl_add_u32 v14, s16, 3, v10
	v_add_nc_u32_e32 v15, v2, v0
	v_add_nc_u32_e32 v17, s16, v9
	s_waitcnt lgkmcnt(0)
	s_mul_i32 s16, s1, s2
	v_lshl_add_u32 v16, s10, 3, v11
	s_branch .LBB0_3
.LBB0_2:                                ;   in Loop: Header=BB0_3 Depth=1
	s_add_i32 s3, s16, s3
	s_cmp_ge_i32 s3, s8
	s_cbranch_scc1 .LBB0_31
.LBB0_3:                                ; =>This Loop Header: Depth=1
                                        ;     Child Loop BB0_6 Depth 2
                                        ;       Child Loop BB0_21 Depth 3
	s_andn2_b32 vcc_lo, exec_lo, s11
	s_cbranch_vccnz .LBB0_2
; %bb.4:                                ;   in Loop: Header=BB0_3 Depth=1
	v_add_nc_u32_e32 v4, s3, v1
	v_mov_b32_e32 v6, 0
	v_mov_b32_e32 v7, 0
	;; [unrolled: 1-line block ×3, first 2 shown]
	s_mov_b32 s17, 0
	v_mul_lo_u32 v2, v4, s9
	v_cmp_gt_i32_e32 vcc_lo, s8, v4
	v_cmp_le_i32_e64 s1, s8, v4
	v_ashrrev_i32_e32 v3, 31, v2
	v_add_co_u32 v18, s2, s12, v2
	v_lshlrev_b64 v[4:5], 3, v[2:3]
	v_add_co_ci_u32_e64 v19, null, s13, v3, s2
	v_add_co_u32 v20, s2, s14, v2
	v_add_co_ci_u32_e64 v21, null, s15, v3, s2
	v_add_co_u32 v22, s2, s4, v4
	v_add_co_ci_u32_e64 v23, null, s5, v5, s2
	s_branch .LBB0_6
.LBB0_5:                                ;   in Loop: Header=BB0_6 Depth=2
	s_or_b32 exec_lo, exec_lo, s18
	ds_read_u8 v24, v17
	ds_read_b64 v[6:7], v14
	s_add_i32 s17, s17, s6
	s_waitcnt lgkmcnt(0)
	s_waitcnt_vscnt null, 0x0
	s_cmp_ge_i32 s17, s9
	s_barrier
	buffer_gl0_inv
	s_cbranch_scc1 .LBB0_2
.LBB0_6:                                ;   Parent Loop BB0_3 Depth=1
                                        ; =>  This Loop Header: Depth=2
                                        ;       Child Loop BB0_21 Depth 3
	v_add_nc_u32_e32 v4, s17, v0
	v_add_nc_u32_e32 v2, s17, v8
	s_and_saveexec_b32 s18, vcc_lo
	s_cbranch_execz .LBB0_18
; %bb.7:                                ;   in Loop: Header=BB0_6 Depth=2
	v_cmp_le_i32_e64 s2, s9, v4
	s_and_saveexec_b32 s19, s2
	s_xor_b32 s2, exec_lo, s19
; %bb.8:                                ;   in Loop: Header=BB0_6 Depth=2
	v_mov_b32_e32 v3, s7
	ds_write_b8 v12, v3
; %bb.9:                                ;   in Loop: Header=BB0_6 Depth=2
	s_andn2_saveexec_b32 s19, s2
	s_cbranch_execz .LBB0_11
; %bb.10:                               ;   in Loop: Header=BB0_6 Depth=2
	v_ashrrev_i32_e32 v5, 31, v4
	v_add_co_u32 v25, s2, v18, v4
	v_add_co_ci_u32_e64 v26, null, v19, v5, s2
	global_load_ubyte v3, v[25:26], off
	s_waitcnt vmcnt(0)
	ds_write_b8 v12, v3
	ds_write_b64 v11, v[4:5]
.LBB0_11:                               ;   in Loop: Header=BB0_6 Depth=2
	s_or_b32 exec_lo, exec_lo, s19
	v_cmp_le_i32_e64 s2, s9, v2
	s_and_saveexec_b32 s19, s2
	s_xor_b32 s2, exec_lo, s19
	s_cbranch_execnz .LBB0_14
; %bb.12:                               ;   in Loop: Header=BB0_6 Depth=2
	s_andn2_saveexec_b32 s19, s2
	s_cbranch_execnz .LBB0_15
.LBB0_13:                               ;   in Loop: Header=BB0_6 Depth=2
	s_or_b32 exec_lo, exec_lo, s19
	s_and_b32 exec_lo, exec_lo, s0
	s_cbranch_execnz .LBB0_16
	s_branch .LBB0_18
.LBB0_14:                               ;   in Loop: Header=BB0_6 Depth=2
	v_mov_b32_e32 v3, s7
	ds_write_b8 v15, v3
	s_andn2_saveexec_b32 s19, s2
	s_cbranch_execz .LBB0_13
.LBB0_15:                               ;   in Loop: Header=BB0_6 Depth=2
	v_ashrrev_i32_e32 v3, 31, v2
	v_add_co_u32 v25, s2, v18, v2
	v_add_co_ci_u32_e64 v26, null, v19, v3, s2
	global_load_ubyte v5, v[25:26], off
	s_waitcnt vmcnt(0)
	ds_write_b8 v13, v5
	ds_write_b64 v16, v[2:3]
	s_or_b32 exec_lo, exec_lo, s19
	s_and_b32 exec_lo, exec_lo, s0
	s_cbranch_execz .LBB0_18
.LBB0_16:                               ;   in Loop: Header=BB0_6 Depth=2
	ds_read_u8 v3, v9
	s_waitcnt lgkmcnt(0)
	v_cmp_lt_u16_sdwa s2, v3, v24 src0_sel:DWORD src1_sel:BYTE_0
	s_and_b32 exec_lo, exec_lo, s2
	s_cbranch_execz .LBB0_18
; %bb.17:                               ;   in Loop: Header=BB0_6 Depth=2
	ds_write_b8 v9, v24
	ds_write_b64 v10, v[6:7]
.LBB0_18:                               ;   in Loop: Header=BB0_6 Depth=2
	s_or_b32 exec_lo, exec_lo, s18
	v_mov_b32_e32 v3, 1
	s_mov_b32 s18, 0
	s_waitcnt lgkmcnt(0)
	s_barrier
	buffer_gl0_inv
	s_inst_prefetch 0x1
	s_branch .LBB0_21
	.p2align	6
.LBB0_19:                               ;   in Loop: Header=BB0_21 Depth=3
	s_or_b32 exec_lo, exec_lo, s20
	v_mov_b32_e32 v3, v5
.LBB0_20:                               ;   in Loop: Header=BB0_21 Depth=3
	s_or_b32 exec_lo, exec_lo, s19
	v_cmp_lt_u32_e64 s2, s10, v3
	s_waitcnt lgkmcnt(0)
	s_barrier
	buffer_gl0_inv
	s_or_b32 s18, s2, s18
	s_andn2_b32 exec_lo, exec_lo, s18
	s_cbranch_execz .LBB0_26
.LBB0_21:                               ;   Parent Loop BB0_3 Depth=1
                                        ;     Parent Loop BB0_6 Depth=2
                                        ; =>    This Inner Loop Header: Depth=3
	v_lshlrev_b32_e32 v5, 1, v3
	s_and_saveexec_b32 s2, s1
	s_xor_b32 s2, exec_lo, s2
; %bb.22:                               ;   in Loop: Header=BB0_21 Depth=3
	v_lshlrev_b32_e32 v3, 1, v3
                                        ; implicit-def: $vgpr5
; %bb.23:                               ;   in Loop: Header=BB0_21 Depth=3
	s_andn2_saveexec_b32 s19, s2
	s_cbranch_execz .LBB0_20
; %bb.24:                               ;   in Loop: Header=BB0_21 Depth=3
	v_ffbl_b32_e32 v6, v3
	v_add_nc_u32_e32 v7, -1, v3
	s_mov_b32 s20, exec_lo
	v_lshrrev_b32_e32 v6, v6, v0
	v_mad_u64_u32 v[24:25], null, v5, v6, v[3:4]
	v_and_b32_e32 v3, v7, v0
	v_add_nc_u32_e32 v6, -1, v24
	v_add_nc_u32_e32 v3, v24, v3
	v_add_nc_u32_e32 v24, v9, v6
	;; [unrolled: 1-line block ×3, first 2 shown]
	ds_read_u8 v24, v24
	ds_read_u8 v25, v7
	s_waitcnt lgkmcnt(0)
	v_cmpx_lt_u16_e64 v25, v24
	s_cbranch_execz .LBB0_19
; %bb.25:                               ;   in Loop: Header=BB0_21 Depth=3
	v_lshl_add_u32 v6, v6, 3, v10
	v_lshl_add_u32 v3, v3, 3, v10
	ds_read_b64 v[25:26], v6
	ds_write_b8 v7, v24
	s_waitcnt lgkmcnt(1)
	ds_write_b64 v3, v[25:26]
	s_branch .LBB0_19
.LBB0_26:                               ;   in Loop: Header=BB0_6 Depth=2
	s_inst_prefetch 0x2
	s_or_b32 exec_lo, exec_lo, s18
	s_and_saveexec_b32 s18, vcc_lo
	s_cbranch_execz .LBB0_5
; %bb.27:                               ;   in Loop: Header=BB0_6 Depth=2
	s_mov_b32 s19, exec_lo
	v_cmpx_gt_i32_e64 s9, v4
	s_cbranch_execz .LBB0_29
; %bb.28:                               ;   in Loop: Header=BB0_6 Depth=2
	ds_read_u8 v26, v12
	ds_read_b64 v[6:7], v11
	v_ashrrev_i32_e32 v5, 31, v4
	v_add_co_u32 v3, s2, v20, v4
	v_lshlrev_b64 v[24:25], 3, v[4:5]
	v_add_co_ci_u32_e64 v4, null, v21, v5, s2
	v_add_co_u32 v24, s2, v22, v24
	v_add_co_ci_u32_e64 v25, null, v23, v25, s2
	s_waitcnt lgkmcnt(1)
	global_store_byte v[3:4], v26, off
	s_waitcnt lgkmcnt(0)
	global_store_dwordx2 v[24:25], v[6:7], off
.LBB0_29:                               ;   in Loop: Header=BB0_6 Depth=2
	s_or_b32 exec_lo, exec_lo, s19
	v_cmp_gt_i32_e64 s2, s9, v2
	s_and_b32 exec_lo, exec_lo, s2
	s_cbranch_execz .LBB0_5
; %bb.30:                               ;   in Loop: Header=BB0_6 Depth=2
	ds_read_u8 v24, v13
	ds_read_b64 v[4:5], v16
	v_ashrrev_i32_e32 v3, 31, v2
	v_lshlrev_b64 v[6:7], 3, v[2:3]
	v_add_co_u32 v2, s2, v20, v2
	v_add_co_ci_u32_e64 v3, null, v21, v3, s2
	v_add_co_u32 v6, s2, v22, v6
	v_add_co_ci_u32_e64 v7, null, v23, v7, s2
	s_waitcnt lgkmcnt(1)
	global_store_byte v[2:3], v24, off
	s_waitcnt lgkmcnt(0)
	global_store_dwordx2 v[6:7], v[4:5], off
	s_branch .LBB0_5
.LBB0_31:
	s_endpgm
	.section	.rodata,"a",@progbits
	.p2align	6, 0x0
	.amdhsa_kernel _ZN2at6native45tensor_kernel_scan_innermost_dim_with_indicesIhSt13greater_equalIhEEEvPKT_PS4_PliijjS4_T0_
		.amdhsa_group_segment_fixed_size 0
		.amdhsa_private_segment_fixed_size 0
		.amdhsa_kernarg_size 304
		.amdhsa_user_sgpr_count 6
		.amdhsa_user_sgpr_private_segment_buffer 1
		.amdhsa_user_sgpr_dispatch_ptr 0
		.amdhsa_user_sgpr_queue_ptr 0
		.amdhsa_user_sgpr_kernarg_segment_ptr 1
		.amdhsa_user_sgpr_dispatch_id 0
		.amdhsa_user_sgpr_flat_scratch_init 0
		.amdhsa_user_sgpr_private_segment_size 0
		.amdhsa_wavefront_size32 1
		.amdhsa_uses_dynamic_stack 0
		.amdhsa_system_sgpr_private_segment_wavefront_offset 0
		.amdhsa_system_sgpr_workgroup_id_x 1
		.amdhsa_system_sgpr_workgroup_id_y 0
		.amdhsa_system_sgpr_workgroup_id_z 0
		.amdhsa_system_sgpr_workgroup_info 0
		.amdhsa_system_vgpr_workitem_id 1
		.amdhsa_next_free_vgpr 27
		.amdhsa_next_free_sgpr 21
		.amdhsa_reserve_vcc 1
		.amdhsa_reserve_flat_scratch 0
		.amdhsa_float_round_mode_32 0
		.amdhsa_float_round_mode_16_64 0
		.amdhsa_float_denorm_mode_32 3
		.amdhsa_float_denorm_mode_16_64 3
		.amdhsa_dx10_clamp 1
		.amdhsa_ieee_mode 1
		.amdhsa_fp16_overflow 0
		.amdhsa_workgroup_processor_mode 1
		.amdhsa_memory_ordered 1
		.amdhsa_forward_progress 1
		.amdhsa_shared_vgpr_count 0
		.amdhsa_exception_fp_ieee_invalid_op 0
		.amdhsa_exception_fp_denorm_src 0
		.amdhsa_exception_fp_ieee_div_zero 0
		.amdhsa_exception_fp_ieee_overflow 0
		.amdhsa_exception_fp_ieee_underflow 0
		.amdhsa_exception_fp_ieee_inexact 0
		.amdhsa_exception_int_div_zero 0
	.end_amdhsa_kernel
	.section	.text._ZN2at6native45tensor_kernel_scan_innermost_dim_with_indicesIhSt13greater_equalIhEEEvPKT_PS4_PliijjS4_T0_,"axG",@progbits,_ZN2at6native45tensor_kernel_scan_innermost_dim_with_indicesIhSt13greater_equalIhEEEvPKT_PS4_PliijjS4_T0_,comdat
.Lfunc_end0:
	.size	_ZN2at6native45tensor_kernel_scan_innermost_dim_with_indicesIhSt13greater_equalIhEEEvPKT_PS4_PliijjS4_T0_, .Lfunc_end0-_ZN2at6native45tensor_kernel_scan_innermost_dim_with_indicesIhSt13greater_equalIhEEEvPKT_PS4_PliijjS4_T0_
                                        ; -- End function
	.set _ZN2at6native45tensor_kernel_scan_innermost_dim_with_indicesIhSt13greater_equalIhEEEvPKT_PS4_PliijjS4_T0_.num_vgpr, 27
	.set _ZN2at6native45tensor_kernel_scan_innermost_dim_with_indicesIhSt13greater_equalIhEEEvPKT_PS4_PliijjS4_T0_.num_agpr, 0
	.set _ZN2at6native45tensor_kernel_scan_innermost_dim_with_indicesIhSt13greater_equalIhEEEvPKT_PS4_PliijjS4_T0_.numbered_sgpr, 21
	.set _ZN2at6native45tensor_kernel_scan_innermost_dim_with_indicesIhSt13greater_equalIhEEEvPKT_PS4_PliijjS4_T0_.num_named_barrier, 0
	.set _ZN2at6native45tensor_kernel_scan_innermost_dim_with_indicesIhSt13greater_equalIhEEEvPKT_PS4_PliijjS4_T0_.private_seg_size, 0
	.set _ZN2at6native45tensor_kernel_scan_innermost_dim_with_indicesIhSt13greater_equalIhEEEvPKT_PS4_PliijjS4_T0_.uses_vcc, 1
	.set _ZN2at6native45tensor_kernel_scan_innermost_dim_with_indicesIhSt13greater_equalIhEEEvPKT_PS4_PliijjS4_T0_.uses_flat_scratch, 0
	.set _ZN2at6native45tensor_kernel_scan_innermost_dim_with_indicesIhSt13greater_equalIhEEEvPKT_PS4_PliijjS4_T0_.has_dyn_sized_stack, 0
	.set _ZN2at6native45tensor_kernel_scan_innermost_dim_with_indicesIhSt13greater_equalIhEEEvPKT_PS4_PliijjS4_T0_.has_recursion, 0
	.set _ZN2at6native45tensor_kernel_scan_innermost_dim_with_indicesIhSt13greater_equalIhEEEvPKT_PS4_PliijjS4_T0_.has_indirect_call, 0
	.section	.AMDGPU.csdata,"",@progbits
; Kernel info:
; codeLenInByte = 1128
; TotalNumSgprs: 23
; NumVgprs: 27
; ScratchSize: 0
; MemoryBound: 0
; FloatMode: 240
; IeeeMode: 1
; LDSByteSize: 0 bytes/workgroup (compile time only)
; SGPRBlocks: 0
; VGPRBlocks: 3
; NumSGPRsForWavesPerEU: 23
; NumVGPRsForWavesPerEU: 27
; Occupancy: 16
; WaveLimiterHint : 0
; COMPUTE_PGM_RSRC2:SCRATCH_EN: 0
; COMPUTE_PGM_RSRC2:USER_SGPR: 6
; COMPUTE_PGM_RSRC2:TRAP_HANDLER: 0
; COMPUTE_PGM_RSRC2:TGID_X_EN: 1
; COMPUTE_PGM_RSRC2:TGID_Y_EN: 0
; COMPUTE_PGM_RSRC2:TGID_Z_EN: 0
; COMPUTE_PGM_RSRC2:TIDIG_COMP_CNT: 1
	.section	.text._ZN2at6native41tensor_kernel_scan_outer_dim_with_indicesIhSt13greater_equalIhEEEvPKT_PS4_PljjjS4_T0_,"axG",@progbits,_ZN2at6native41tensor_kernel_scan_outer_dim_with_indicesIhSt13greater_equalIhEEEvPKT_PS4_PljjjS4_T0_,comdat
	.protected	_ZN2at6native41tensor_kernel_scan_outer_dim_with_indicesIhSt13greater_equalIhEEEvPKT_PS4_PljjjS4_T0_ ; -- Begin function _ZN2at6native41tensor_kernel_scan_outer_dim_with_indicesIhSt13greater_equalIhEEEvPKT_PS4_PljjjS4_T0_
	.globl	_ZN2at6native41tensor_kernel_scan_outer_dim_with_indicesIhSt13greater_equalIhEEEvPKT_PS4_PljjjS4_T0_
	.p2align	8
	.type	_ZN2at6native41tensor_kernel_scan_outer_dim_with_indicesIhSt13greater_equalIhEEEvPKT_PS4_PljjjS4_T0_,@function
_ZN2at6native41tensor_kernel_scan_outer_dim_with_indicesIhSt13greater_equalIhEEEvPKT_PS4_PljjjS4_T0_: ; @_ZN2at6native41tensor_kernel_scan_outer_dim_with_indicesIhSt13greater_equalIhEEEvPKT_PS4_PljjjS4_T0_
; %bb.0:
	s_load_dwordx4 s[8:11], s[4:5], 0x18
	s_waitcnt lgkmcnt(0)
	s_cmp_ge_u32 s6, s8
	s_cbranch_scc1 .LBB1_9
; %bb.1:
	s_clause 0x3
	s_load_dword s0, s[4:5], 0x34
	s_load_dword s1, s[4:5], 0x28
	s_load_dwordx4 s[12:15], s[4:5], 0x0
	s_load_dwordx2 s[2:3], s[4:5], 0x10
	s_add_u32 s4, s4, 40
	s_addc_u32 s5, s5, 0
	s_mov_b32 s17, 0
	v_mov_b32_e32 v2, 0
	s_mov_b32 s18, s9
	s_mul_i32 s16, s6, s10
	s_mov_b32 s19, s17
	s_mul_i32 s16, s16, s9
	s_waitcnt lgkmcnt(0)
	s_and_b32 s24, s0, 0xffff
	s_cmp_lg_u32 s10, 0
	v_mad_u64_u32 v[0:1], null, s7, s24, v[0:1]
	s_mul_i32 s25, s1, s10
	s_cselect_b32 s7, -1, 0
	s_mul_i32 s25, s25, s9
	s_lshl_b64 s[20:21], s[18:19], 3
	v_cmp_gt_u32_e64 s0, s9, v0
	s_branch .LBB1_3
.LBB1_2:                                ;   in Loop: Header=BB1_3 Depth=1
	s_or_b32 exec_lo, exec_lo, s19
	s_add_i32 s6, s1, s6
	s_add_i32 s16, s16, s25
	s_cmp_ge_u32 s6, s8
	s_cbranch_scc1 .LBB1_9
.LBB1_3:                                ; =>This Loop Header: Depth=1
                                        ;     Child Loop BB1_6 Depth 2
                                        ;       Child Loop BB1_8 Depth 3
	s_and_saveexec_b32 s19, s0
	s_cbranch_execz .LBB1_2
; %bb.4:                                ;   in Loop: Header=BB1_3 Depth=1
	s_load_dword s28, s[4:5], 0x4
	s_lshl_b64 s[22:23], s[16:17], 3
	v_mov_b32_e32 v1, v0
	s_add_u32 s26, s2, s22
	s_addc_u32 s27, s3, s23
	s_mov_b32 s29, 0
	s_waitcnt lgkmcnt(0)
	s_mul_i32 s28, s28, s24
	s_branch .LBB1_6
.LBB1_5:                                ;   in Loop: Header=BB1_6 Depth=2
	s_inst_prefetch 0x2
	v_add_nc_u32_e32 v1, s28, v1
	v_cmp_le_u32_e32 vcc_lo, s9, v1
	s_or_b32 s29, vcc_lo, s29
	s_andn2_b32 exec_lo, exec_lo, s29
	s_cbranch_execz .LBB1_2
.LBB1_6:                                ;   Parent Loop BB1_3 Depth=1
                                        ; =>  This Loop Header: Depth=2
                                        ;       Child Loop BB1_8 Depth 3
	s_andn2_b32 vcc_lo, exec_lo, s7
	s_cbranch_vccnz .LBB1_5
; %bb.7:                                ;   in Loop: Header=BB1_6 Depth=2
	v_lshlrev_b64 v[3:4], 3, v[1:2]
	v_add_co_u32 v7, s22, s16, v1
	v_mov_b32_e32 v5, 0
	v_add_co_ci_u32_e64 v8, null, 0, 0, s22
	v_add_co_u32 v3, vcc_lo, s26, v3
	v_add_co_ci_u32_e64 v4, null, s27, v4, vcc_lo
	v_mov_b32_e32 v6, 0
	v_mov_b32_e32 v9, s11
	s_mov_b64 s[22:23], 0
	s_inst_prefetch 0x1
	.p2align	6
.LBB1_8:                                ;   Parent Loop BB1_3 Depth=1
                                        ;     Parent Loop BB1_6 Depth=2
                                        ; =>    This Inner Loop Header: Depth=3
	v_add_co_u32 v10, vcc_lo, s12, v7
	v_add_co_ci_u32_e64 v11, null, s13, v8, vcc_lo
	v_and_b32_e32 v9, 0xff, v9
	global_load_ubyte v12, v[10:11], off
	v_add_co_u32 v10, vcc_lo, s14, v7
	v_add_co_ci_u32_e64 v11, null, s15, v8, vcc_lo
	v_add_co_u32 v7, vcc_lo, v7, s18
	v_add_co_ci_u32_e64 v8, null, 0, v8, vcc_lo
	s_waitcnt vmcnt(0)
	v_cmp_lt_u16_e32 vcc_lo, v12, v9
	v_max_u16 v9, v12, v9
	v_cndmask_b32_e32 v6, s23, v6, vcc_lo
	v_cndmask_b32_e32 v5, s22, v5, vcc_lo
	global_store_byte v[10:11], v9, off
	s_add_u32 s22, s22, 1
	s_addc_u32 s23, s23, 0
	s_cmp_eq_u32 s10, s22
	global_store_dwordx2 v[3:4], v[5:6], off
	v_add_co_u32 v3, vcc_lo, v3, s20
	v_add_co_ci_u32_e64 v4, null, s21, v4, vcc_lo
	s_cbranch_scc0 .LBB1_8
	s_branch .LBB1_5
.LBB1_9:
	s_endpgm
	.section	.rodata,"a",@progbits
	.p2align	6, 0x0
	.amdhsa_kernel _ZN2at6native41tensor_kernel_scan_outer_dim_with_indicesIhSt13greater_equalIhEEEvPKT_PS4_PljjjS4_T0_
		.amdhsa_group_segment_fixed_size 0
		.amdhsa_private_segment_fixed_size 0
		.amdhsa_kernarg_size 296
		.amdhsa_user_sgpr_count 6
		.amdhsa_user_sgpr_private_segment_buffer 1
		.amdhsa_user_sgpr_dispatch_ptr 0
		.amdhsa_user_sgpr_queue_ptr 0
		.amdhsa_user_sgpr_kernarg_segment_ptr 1
		.amdhsa_user_sgpr_dispatch_id 0
		.amdhsa_user_sgpr_flat_scratch_init 0
		.amdhsa_user_sgpr_private_segment_size 0
		.amdhsa_wavefront_size32 1
		.amdhsa_uses_dynamic_stack 0
		.amdhsa_system_sgpr_private_segment_wavefront_offset 0
		.amdhsa_system_sgpr_workgroup_id_x 1
		.amdhsa_system_sgpr_workgroup_id_y 1
		.amdhsa_system_sgpr_workgroup_id_z 0
		.amdhsa_system_sgpr_workgroup_info 0
		.amdhsa_system_vgpr_workitem_id 0
		.amdhsa_next_free_vgpr 13
		.amdhsa_next_free_sgpr 30
		.amdhsa_reserve_vcc 1
		.amdhsa_reserve_flat_scratch 0
		.amdhsa_float_round_mode_32 0
		.amdhsa_float_round_mode_16_64 0
		.amdhsa_float_denorm_mode_32 3
		.amdhsa_float_denorm_mode_16_64 3
		.amdhsa_dx10_clamp 1
		.amdhsa_ieee_mode 1
		.amdhsa_fp16_overflow 0
		.amdhsa_workgroup_processor_mode 1
		.amdhsa_memory_ordered 1
		.amdhsa_forward_progress 1
		.amdhsa_shared_vgpr_count 0
		.amdhsa_exception_fp_ieee_invalid_op 0
		.amdhsa_exception_fp_denorm_src 0
		.amdhsa_exception_fp_ieee_div_zero 0
		.amdhsa_exception_fp_ieee_overflow 0
		.amdhsa_exception_fp_ieee_underflow 0
		.amdhsa_exception_fp_ieee_inexact 0
		.amdhsa_exception_int_div_zero 0
	.end_amdhsa_kernel
	.section	.text._ZN2at6native41tensor_kernel_scan_outer_dim_with_indicesIhSt13greater_equalIhEEEvPKT_PS4_PljjjS4_T0_,"axG",@progbits,_ZN2at6native41tensor_kernel_scan_outer_dim_with_indicesIhSt13greater_equalIhEEEvPKT_PS4_PljjjS4_T0_,comdat
.Lfunc_end1:
	.size	_ZN2at6native41tensor_kernel_scan_outer_dim_with_indicesIhSt13greater_equalIhEEEvPKT_PS4_PljjjS4_T0_, .Lfunc_end1-_ZN2at6native41tensor_kernel_scan_outer_dim_with_indicesIhSt13greater_equalIhEEEvPKT_PS4_PljjjS4_T0_
                                        ; -- End function
	.set _ZN2at6native41tensor_kernel_scan_outer_dim_with_indicesIhSt13greater_equalIhEEEvPKT_PS4_PljjjS4_T0_.num_vgpr, 13
	.set _ZN2at6native41tensor_kernel_scan_outer_dim_with_indicesIhSt13greater_equalIhEEEvPKT_PS4_PljjjS4_T0_.num_agpr, 0
	.set _ZN2at6native41tensor_kernel_scan_outer_dim_with_indicesIhSt13greater_equalIhEEEvPKT_PS4_PljjjS4_T0_.numbered_sgpr, 30
	.set _ZN2at6native41tensor_kernel_scan_outer_dim_with_indicesIhSt13greater_equalIhEEEvPKT_PS4_PljjjS4_T0_.num_named_barrier, 0
	.set _ZN2at6native41tensor_kernel_scan_outer_dim_with_indicesIhSt13greater_equalIhEEEvPKT_PS4_PljjjS4_T0_.private_seg_size, 0
	.set _ZN2at6native41tensor_kernel_scan_outer_dim_with_indicesIhSt13greater_equalIhEEEvPKT_PS4_PljjjS4_T0_.uses_vcc, 1
	.set _ZN2at6native41tensor_kernel_scan_outer_dim_with_indicesIhSt13greater_equalIhEEEvPKT_PS4_PljjjS4_T0_.uses_flat_scratch, 0
	.set _ZN2at6native41tensor_kernel_scan_outer_dim_with_indicesIhSt13greater_equalIhEEEvPKT_PS4_PljjjS4_T0_.has_dyn_sized_stack, 0
	.set _ZN2at6native41tensor_kernel_scan_outer_dim_with_indicesIhSt13greater_equalIhEEEvPKT_PS4_PljjjS4_T0_.has_recursion, 0
	.set _ZN2at6native41tensor_kernel_scan_outer_dim_with_indicesIhSt13greater_equalIhEEEvPKT_PS4_PljjjS4_T0_.has_indirect_call, 0
	.section	.AMDGPU.csdata,"",@progbits
; Kernel info:
; codeLenInByte = 464
; TotalNumSgprs: 32
; NumVgprs: 13
; ScratchSize: 0
; MemoryBound: 0
; FloatMode: 240
; IeeeMode: 1
; LDSByteSize: 0 bytes/workgroup (compile time only)
; SGPRBlocks: 0
; VGPRBlocks: 1
; NumSGPRsForWavesPerEU: 32
; NumVGPRsForWavesPerEU: 13
; Occupancy: 16
; WaveLimiterHint : 0
; COMPUTE_PGM_RSRC2:SCRATCH_EN: 0
; COMPUTE_PGM_RSRC2:USER_SGPR: 6
; COMPUTE_PGM_RSRC2:TRAP_HANDLER: 0
; COMPUTE_PGM_RSRC2:TGID_X_EN: 1
; COMPUTE_PGM_RSRC2:TGID_Y_EN: 1
; COMPUTE_PGM_RSRC2:TGID_Z_EN: 0
; COMPUTE_PGM_RSRC2:TIDIG_COMP_CNT: 0
	.section	.text._ZN2at6native45tensor_kernel_scan_innermost_dim_with_indicesIaSt13greater_equalIaEEEvPKT_PS4_PliijjS4_T0_,"axG",@progbits,_ZN2at6native45tensor_kernel_scan_innermost_dim_with_indicesIaSt13greater_equalIaEEEvPKT_PS4_PliijjS4_T0_,comdat
	.protected	_ZN2at6native45tensor_kernel_scan_innermost_dim_with_indicesIaSt13greater_equalIaEEEvPKT_PS4_PliijjS4_T0_ ; -- Begin function _ZN2at6native45tensor_kernel_scan_innermost_dim_with_indicesIaSt13greater_equalIaEEEvPKT_PS4_PliijjS4_T0_
	.globl	_ZN2at6native45tensor_kernel_scan_innermost_dim_with_indicesIaSt13greater_equalIaEEEvPKT_PS4_PliijjS4_T0_
	.p2align	8
	.type	_ZN2at6native45tensor_kernel_scan_innermost_dim_with_indicesIaSt13greater_equalIaEEEvPKT_PS4_PliijjS4_T0_,@function
_ZN2at6native45tensor_kernel_scan_innermost_dim_with_indicesIaSt13greater_equalIaEEEvPKT_PS4_PliijjS4_T0_: ; @_ZN2at6native45tensor_kernel_scan_innermost_dim_with_indicesIaSt13greater_equalIaEEEvPKT_PS4_PliijjS4_T0_
; %bb.0:
	s_clause 0x1
	s_load_dword s2, s[4:5], 0x3c
	s_load_dwordx4 s[8:11], s[4:5], 0x18
	s_add_u32 s0, s4, 48
	s_addc_u32 s1, s5, 0
	s_waitcnt lgkmcnt(0)
	s_lshr_b32 s2, s2, 16
	s_mul_i32 s3, s6, s2
	s_cmp_ge_i32 s3, s8
	s_cbranch_scc1 .LBB2_31
; %bb.1:
	s_lshl_b32 s6, 2, s11
	s_clause 0x2
	s_load_dword s7, s[4:5], 0x28
	s_load_dwordx4 s[12:15], s[4:5], 0x0
	s_load_dwordx2 s[4:5], s[4:5], 0x10
	v_mul_lo_u32 v2, s6, v1
	s_load_dword s1, s[0:1], 0x0
	s_lshl_b32 s16, s10, 1
	s_lshl_b32 s10, 1, s11
	s_cmp_gt_i32 s9, 0
	v_add_nc_u32_e32 v8, s10, v0
	s_cselect_b32 s11, -1, 0
	v_cmp_eq_u32_e64 s0, 0, v0
	v_lshlrev_b32_e32 v3, 3, v2
	v_add_nc_u32_e32 v9, 0, v2
	v_add3_u32 v10, 0, s16, v3
	v_add_nc_u32_e32 v2, s10, v9
	s_add_i32 s16, s6, -1
	v_add_nc_u32_e32 v12, v9, v0
	v_add_nc_u32_e32 v13, v9, v8
	v_lshl_add_u32 v11, v0, 3, v10
	v_lshl_add_u32 v14, s16, 3, v10
	v_add_nc_u32_e32 v15, v2, v0
	v_add_nc_u32_e32 v17, s16, v9
	s_waitcnt lgkmcnt(0)
	s_mul_i32 s16, s1, s2
	v_lshl_add_u32 v16, s10, 3, v11
	s_branch .LBB2_3
.LBB2_2:                                ;   in Loop: Header=BB2_3 Depth=1
	s_add_i32 s3, s16, s3
	s_cmp_ge_i32 s3, s8
	s_cbranch_scc1 .LBB2_31
.LBB2_3:                                ; =>This Loop Header: Depth=1
                                        ;     Child Loop BB2_6 Depth 2
                                        ;       Child Loop BB2_21 Depth 3
	s_andn2_b32 vcc_lo, exec_lo, s11
	s_cbranch_vccnz .LBB2_2
; %bb.4:                                ;   in Loop: Header=BB2_3 Depth=1
	v_add_nc_u32_e32 v4, s3, v1
	v_mov_b32_e32 v6, 0
	v_mov_b32_e32 v7, 0
	;; [unrolled: 1-line block ×3, first 2 shown]
	s_mov_b32 s17, 0
	v_mul_lo_u32 v2, v4, s9
	v_cmp_gt_i32_e32 vcc_lo, s8, v4
	v_cmp_le_i32_e64 s1, s8, v4
	v_ashrrev_i32_e32 v3, 31, v2
	v_add_co_u32 v18, s2, s12, v2
	v_lshlrev_b64 v[4:5], 3, v[2:3]
	v_add_co_ci_u32_e64 v19, null, s13, v3, s2
	v_add_co_u32 v20, s2, s14, v2
	v_add_co_ci_u32_e64 v21, null, s15, v3, s2
	v_add_co_u32 v22, s2, s4, v4
	v_add_co_ci_u32_e64 v23, null, s5, v5, s2
	s_branch .LBB2_6
.LBB2_5:                                ;   in Loop: Header=BB2_6 Depth=2
	s_or_b32 exec_lo, exec_lo, s18
	ds_read_u8 v24, v17
	ds_read_b64 v[6:7], v14
	s_add_i32 s17, s17, s6
	s_waitcnt lgkmcnt(0)
	s_waitcnt_vscnt null, 0x0
	s_cmp_ge_i32 s17, s9
	s_barrier
	buffer_gl0_inv
	s_cbranch_scc1 .LBB2_2
.LBB2_6:                                ;   Parent Loop BB2_3 Depth=1
                                        ; =>  This Loop Header: Depth=2
                                        ;       Child Loop BB2_21 Depth 3
	v_add_nc_u32_e32 v4, s17, v0
	v_add_nc_u32_e32 v2, s17, v8
	s_and_saveexec_b32 s18, vcc_lo
	s_cbranch_execz .LBB2_18
; %bb.7:                                ;   in Loop: Header=BB2_6 Depth=2
	v_cmp_le_i32_e64 s2, s9, v4
	s_and_saveexec_b32 s19, s2
	s_xor_b32 s2, exec_lo, s19
; %bb.8:                                ;   in Loop: Header=BB2_6 Depth=2
	v_mov_b32_e32 v3, s7
	ds_write_b8 v12, v3
; %bb.9:                                ;   in Loop: Header=BB2_6 Depth=2
	s_andn2_saveexec_b32 s19, s2
	s_cbranch_execz .LBB2_11
; %bb.10:                               ;   in Loop: Header=BB2_6 Depth=2
	v_ashrrev_i32_e32 v5, 31, v4
	v_add_co_u32 v25, s2, v18, v4
	v_add_co_ci_u32_e64 v26, null, v19, v5, s2
	global_load_ubyte v3, v[25:26], off
	s_waitcnt vmcnt(0)
	ds_write_b8 v12, v3
	ds_write_b64 v11, v[4:5]
.LBB2_11:                               ;   in Loop: Header=BB2_6 Depth=2
	s_or_b32 exec_lo, exec_lo, s19
	v_cmp_le_i32_e64 s2, s9, v2
	s_and_saveexec_b32 s19, s2
	s_xor_b32 s2, exec_lo, s19
	s_cbranch_execnz .LBB2_14
; %bb.12:                               ;   in Loop: Header=BB2_6 Depth=2
	s_andn2_saveexec_b32 s19, s2
	s_cbranch_execnz .LBB2_15
.LBB2_13:                               ;   in Loop: Header=BB2_6 Depth=2
	s_or_b32 exec_lo, exec_lo, s19
	s_and_b32 exec_lo, exec_lo, s0
	s_cbranch_execnz .LBB2_16
	s_branch .LBB2_18
.LBB2_14:                               ;   in Loop: Header=BB2_6 Depth=2
	v_mov_b32_e32 v3, s7
	ds_write_b8 v15, v3
	s_andn2_saveexec_b32 s19, s2
	s_cbranch_execz .LBB2_13
.LBB2_15:                               ;   in Loop: Header=BB2_6 Depth=2
	v_ashrrev_i32_e32 v3, 31, v2
	v_add_co_u32 v25, s2, v18, v2
	v_add_co_ci_u32_e64 v26, null, v19, v3, s2
	global_load_ubyte v5, v[25:26], off
	s_waitcnt vmcnt(0)
	ds_write_b8 v13, v5
	ds_write_b64 v16, v[2:3]
	s_or_b32 exec_lo, exec_lo, s19
	s_and_b32 exec_lo, exec_lo, s0
	s_cbranch_execz .LBB2_18
.LBB2_16:                               ;   in Loop: Header=BB2_6 Depth=2
	ds_read_i8 v3, v9
	s_waitcnt lgkmcnt(0)
	v_cmp_lt_i16_sdwa s2, v3, sext(v24) src0_sel:DWORD src1_sel:BYTE_0
	s_and_b32 exec_lo, exec_lo, s2
	s_cbranch_execz .LBB2_18
; %bb.17:                               ;   in Loop: Header=BB2_6 Depth=2
	ds_write_b8 v9, v24
	ds_write_b64 v10, v[6:7]
.LBB2_18:                               ;   in Loop: Header=BB2_6 Depth=2
	s_or_b32 exec_lo, exec_lo, s18
	v_mov_b32_e32 v3, 1
	s_mov_b32 s18, 0
	s_waitcnt lgkmcnt(0)
	s_barrier
	buffer_gl0_inv
	s_inst_prefetch 0x1
	s_branch .LBB2_21
	.p2align	6
.LBB2_19:                               ;   in Loop: Header=BB2_21 Depth=3
	s_or_b32 exec_lo, exec_lo, s20
	v_mov_b32_e32 v3, v5
.LBB2_20:                               ;   in Loop: Header=BB2_21 Depth=3
	s_or_b32 exec_lo, exec_lo, s19
	v_cmp_lt_u32_e64 s2, s10, v3
	s_waitcnt lgkmcnt(0)
	s_barrier
	buffer_gl0_inv
	s_or_b32 s18, s2, s18
	s_andn2_b32 exec_lo, exec_lo, s18
	s_cbranch_execz .LBB2_26
.LBB2_21:                               ;   Parent Loop BB2_3 Depth=1
                                        ;     Parent Loop BB2_6 Depth=2
                                        ; =>    This Inner Loop Header: Depth=3
	v_lshlrev_b32_e32 v5, 1, v3
	s_and_saveexec_b32 s2, s1
	s_xor_b32 s2, exec_lo, s2
; %bb.22:                               ;   in Loop: Header=BB2_21 Depth=3
	v_lshlrev_b32_e32 v3, 1, v3
                                        ; implicit-def: $vgpr5
; %bb.23:                               ;   in Loop: Header=BB2_21 Depth=3
	s_andn2_saveexec_b32 s19, s2
	s_cbranch_execz .LBB2_20
; %bb.24:                               ;   in Loop: Header=BB2_21 Depth=3
	v_ffbl_b32_e32 v6, v3
	v_add_nc_u32_e32 v7, -1, v3
	s_mov_b32 s20, exec_lo
	v_lshrrev_b32_e32 v6, v6, v0
	v_mad_u64_u32 v[24:25], null, v5, v6, v[3:4]
	v_and_b32_e32 v3, v7, v0
	v_add_nc_u32_e32 v6, -1, v24
	v_add_nc_u32_e32 v3, v24, v3
	v_add_nc_u32_e32 v24, v9, v6
	;; [unrolled: 1-line block ×3, first 2 shown]
	ds_read_i8 v24, v24
	ds_read_i8 v25, v7
	s_waitcnt lgkmcnt(0)
	v_cmpx_lt_i16_e64 v25, v24
	s_cbranch_execz .LBB2_19
; %bb.25:                               ;   in Loop: Header=BB2_21 Depth=3
	v_lshl_add_u32 v6, v6, 3, v10
	v_lshl_add_u32 v3, v3, 3, v10
	ds_read_b64 v[25:26], v6
	ds_write_b8 v7, v24
	s_waitcnt lgkmcnt(1)
	ds_write_b64 v3, v[25:26]
	s_branch .LBB2_19
.LBB2_26:                               ;   in Loop: Header=BB2_6 Depth=2
	s_inst_prefetch 0x2
	s_or_b32 exec_lo, exec_lo, s18
	s_and_saveexec_b32 s18, vcc_lo
	s_cbranch_execz .LBB2_5
; %bb.27:                               ;   in Loop: Header=BB2_6 Depth=2
	s_mov_b32 s19, exec_lo
	v_cmpx_gt_i32_e64 s9, v4
	s_cbranch_execz .LBB2_29
; %bb.28:                               ;   in Loop: Header=BB2_6 Depth=2
	ds_read_u8 v26, v12
	ds_read_b64 v[6:7], v11
	v_ashrrev_i32_e32 v5, 31, v4
	v_add_co_u32 v3, s2, v20, v4
	v_lshlrev_b64 v[24:25], 3, v[4:5]
	v_add_co_ci_u32_e64 v4, null, v21, v5, s2
	v_add_co_u32 v24, s2, v22, v24
	v_add_co_ci_u32_e64 v25, null, v23, v25, s2
	s_waitcnt lgkmcnt(1)
	global_store_byte v[3:4], v26, off
	s_waitcnt lgkmcnt(0)
	global_store_dwordx2 v[24:25], v[6:7], off
.LBB2_29:                               ;   in Loop: Header=BB2_6 Depth=2
	s_or_b32 exec_lo, exec_lo, s19
	v_cmp_gt_i32_e64 s2, s9, v2
	s_and_b32 exec_lo, exec_lo, s2
	s_cbranch_execz .LBB2_5
; %bb.30:                               ;   in Loop: Header=BB2_6 Depth=2
	ds_read_u8 v24, v13
	ds_read_b64 v[4:5], v16
	v_ashrrev_i32_e32 v3, 31, v2
	v_lshlrev_b64 v[6:7], 3, v[2:3]
	v_add_co_u32 v2, s2, v20, v2
	v_add_co_ci_u32_e64 v3, null, v21, v3, s2
	v_add_co_u32 v6, s2, v22, v6
	v_add_co_ci_u32_e64 v7, null, v23, v7, s2
	s_waitcnt lgkmcnt(1)
	global_store_byte v[2:3], v24, off
	s_waitcnt lgkmcnt(0)
	global_store_dwordx2 v[6:7], v[4:5], off
	s_branch .LBB2_5
.LBB2_31:
	s_endpgm
	.section	.rodata,"a",@progbits
	.p2align	6, 0x0
	.amdhsa_kernel _ZN2at6native45tensor_kernel_scan_innermost_dim_with_indicesIaSt13greater_equalIaEEEvPKT_PS4_PliijjS4_T0_
		.amdhsa_group_segment_fixed_size 0
		.amdhsa_private_segment_fixed_size 0
		.amdhsa_kernarg_size 304
		.amdhsa_user_sgpr_count 6
		.amdhsa_user_sgpr_private_segment_buffer 1
		.amdhsa_user_sgpr_dispatch_ptr 0
		.amdhsa_user_sgpr_queue_ptr 0
		.amdhsa_user_sgpr_kernarg_segment_ptr 1
		.amdhsa_user_sgpr_dispatch_id 0
		.amdhsa_user_sgpr_flat_scratch_init 0
		.amdhsa_user_sgpr_private_segment_size 0
		.amdhsa_wavefront_size32 1
		.amdhsa_uses_dynamic_stack 0
		.amdhsa_system_sgpr_private_segment_wavefront_offset 0
		.amdhsa_system_sgpr_workgroup_id_x 1
		.amdhsa_system_sgpr_workgroup_id_y 0
		.amdhsa_system_sgpr_workgroup_id_z 0
		.amdhsa_system_sgpr_workgroup_info 0
		.amdhsa_system_vgpr_workitem_id 1
		.amdhsa_next_free_vgpr 27
		.amdhsa_next_free_sgpr 21
		.amdhsa_reserve_vcc 1
		.amdhsa_reserve_flat_scratch 0
		.amdhsa_float_round_mode_32 0
		.amdhsa_float_round_mode_16_64 0
		.amdhsa_float_denorm_mode_32 3
		.amdhsa_float_denorm_mode_16_64 3
		.amdhsa_dx10_clamp 1
		.amdhsa_ieee_mode 1
		.amdhsa_fp16_overflow 0
		.amdhsa_workgroup_processor_mode 1
		.amdhsa_memory_ordered 1
		.amdhsa_forward_progress 1
		.amdhsa_shared_vgpr_count 0
		.amdhsa_exception_fp_ieee_invalid_op 0
		.amdhsa_exception_fp_denorm_src 0
		.amdhsa_exception_fp_ieee_div_zero 0
		.amdhsa_exception_fp_ieee_overflow 0
		.amdhsa_exception_fp_ieee_underflow 0
		.amdhsa_exception_fp_ieee_inexact 0
		.amdhsa_exception_int_div_zero 0
	.end_amdhsa_kernel
	.section	.text._ZN2at6native45tensor_kernel_scan_innermost_dim_with_indicesIaSt13greater_equalIaEEEvPKT_PS4_PliijjS4_T0_,"axG",@progbits,_ZN2at6native45tensor_kernel_scan_innermost_dim_with_indicesIaSt13greater_equalIaEEEvPKT_PS4_PliijjS4_T0_,comdat
.Lfunc_end2:
	.size	_ZN2at6native45tensor_kernel_scan_innermost_dim_with_indicesIaSt13greater_equalIaEEEvPKT_PS4_PliijjS4_T0_, .Lfunc_end2-_ZN2at6native45tensor_kernel_scan_innermost_dim_with_indicesIaSt13greater_equalIaEEEvPKT_PS4_PliijjS4_T0_
                                        ; -- End function
	.set _ZN2at6native45tensor_kernel_scan_innermost_dim_with_indicesIaSt13greater_equalIaEEEvPKT_PS4_PliijjS4_T0_.num_vgpr, 27
	.set _ZN2at6native45tensor_kernel_scan_innermost_dim_with_indicesIaSt13greater_equalIaEEEvPKT_PS4_PliijjS4_T0_.num_agpr, 0
	.set _ZN2at6native45tensor_kernel_scan_innermost_dim_with_indicesIaSt13greater_equalIaEEEvPKT_PS4_PliijjS4_T0_.numbered_sgpr, 21
	.set _ZN2at6native45tensor_kernel_scan_innermost_dim_with_indicesIaSt13greater_equalIaEEEvPKT_PS4_PliijjS4_T0_.num_named_barrier, 0
	.set _ZN2at6native45tensor_kernel_scan_innermost_dim_with_indicesIaSt13greater_equalIaEEEvPKT_PS4_PliijjS4_T0_.private_seg_size, 0
	.set _ZN2at6native45tensor_kernel_scan_innermost_dim_with_indicesIaSt13greater_equalIaEEEvPKT_PS4_PliijjS4_T0_.uses_vcc, 1
	.set _ZN2at6native45tensor_kernel_scan_innermost_dim_with_indicesIaSt13greater_equalIaEEEvPKT_PS4_PliijjS4_T0_.uses_flat_scratch, 0
	.set _ZN2at6native45tensor_kernel_scan_innermost_dim_with_indicesIaSt13greater_equalIaEEEvPKT_PS4_PliijjS4_T0_.has_dyn_sized_stack, 0
	.set _ZN2at6native45tensor_kernel_scan_innermost_dim_with_indicesIaSt13greater_equalIaEEEvPKT_PS4_PliijjS4_T0_.has_recursion, 0
	.set _ZN2at6native45tensor_kernel_scan_innermost_dim_with_indicesIaSt13greater_equalIaEEEvPKT_PS4_PliijjS4_T0_.has_indirect_call, 0
	.section	.AMDGPU.csdata,"",@progbits
; Kernel info:
; codeLenInByte = 1128
; TotalNumSgprs: 23
; NumVgprs: 27
; ScratchSize: 0
; MemoryBound: 0
; FloatMode: 240
; IeeeMode: 1
; LDSByteSize: 0 bytes/workgroup (compile time only)
; SGPRBlocks: 0
; VGPRBlocks: 3
; NumSGPRsForWavesPerEU: 23
; NumVGPRsForWavesPerEU: 27
; Occupancy: 16
; WaveLimiterHint : 0
; COMPUTE_PGM_RSRC2:SCRATCH_EN: 0
; COMPUTE_PGM_RSRC2:USER_SGPR: 6
; COMPUTE_PGM_RSRC2:TRAP_HANDLER: 0
; COMPUTE_PGM_RSRC2:TGID_X_EN: 1
; COMPUTE_PGM_RSRC2:TGID_Y_EN: 0
; COMPUTE_PGM_RSRC2:TGID_Z_EN: 0
; COMPUTE_PGM_RSRC2:TIDIG_COMP_CNT: 1
	.section	.text._ZN2at6native41tensor_kernel_scan_outer_dim_with_indicesIaSt13greater_equalIaEEEvPKT_PS4_PljjjS4_T0_,"axG",@progbits,_ZN2at6native41tensor_kernel_scan_outer_dim_with_indicesIaSt13greater_equalIaEEEvPKT_PS4_PljjjS4_T0_,comdat
	.protected	_ZN2at6native41tensor_kernel_scan_outer_dim_with_indicesIaSt13greater_equalIaEEEvPKT_PS4_PljjjS4_T0_ ; -- Begin function _ZN2at6native41tensor_kernel_scan_outer_dim_with_indicesIaSt13greater_equalIaEEEvPKT_PS4_PljjjS4_T0_
	.globl	_ZN2at6native41tensor_kernel_scan_outer_dim_with_indicesIaSt13greater_equalIaEEEvPKT_PS4_PljjjS4_T0_
	.p2align	8
	.type	_ZN2at6native41tensor_kernel_scan_outer_dim_with_indicesIaSt13greater_equalIaEEEvPKT_PS4_PljjjS4_T0_,@function
_ZN2at6native41tensor_kernel_scan_outer_dim_with_indicesIaSt13greater_equalIaEEEvPKT_PS4_PljjjS4_T0_: ; @_ZN2at6native41tensor_kernel_scan_outer_dim_with_indicesIaSt13greater_equalIaEEEvPKT_PS4_PljjjS4_T0_
; %bb.0:
	s_load_dwordx4 s[8:11], s[4:5], 0x18
	s_waitcnt lgkmcnt(0)
	s_cmp_ge_u32 s6, s8
	s_cbranch_scc1 .LBB3_9
; %bb.1:
	s_clause 0x3
	s_load_dword s0, s[4:5], 0x34
	s_load_dword s1, s[4:5], 0x28
	s_load_dwordx4 s[12:15], s[4:5], 0x0
	s_load_dwordx2 s[2:3], s[4:5], 0x10
	s_add_u32 s4, s4, 40
	s_addc_u32 s5, s5, 0
	s_mov_b32 s17, 0
	v_mov_b32_e32 v2, 0
	s_mov_b32 s18, s9
	s_mul_i32 s16, s6, s10
	s_mov_b32 s19, s17
	s_mul_i32 s16, s16, s9
	s_waitcnt lgkmcnt(0)
	s_and_b32 s24, s0, 0xffff
	s_cmp_lg_u32 s10, 0
	v_mad_u64_u32 v[0:1], null, s7, s24, v[0:1]
	s_mul_i32 s25, s1, s10
	s_cselect_b32 s7, -1, 0
	s_mul_i32 s25, s25, s9
	s_lshl_b64 s[20:21], s[18:19], 3
	v_cmp_gt_u32_e64 s0, s9, v0
	s_branch .LBB3_3
.LBB3_2:                                ;   in Loop: Header=BB3_3 Depth=1
	s_or_b32 exec_lo, exec_lo, s19
	s_add_i32 s6, s1, s6
	s_add_i32 s16, s16, s25
	s_cmp_ge_u32 s6, s8
	s_cbranch_scc1 .LBB3_9
.LBB3_3:                                ; =>This Loop Header: Depth=1
                                        ;     Child Loop BB3_6 Depth 2
                                        ;       Child Loop BB3_8 Depth 3
	s_and_saveexec_b32 s19, s0
	s_cbranch_execz .LBB3_2
; %bb.4:                                ;   in Loop: Header=BB3_3 Depth=1
	s_load_dword s28, s[4:5], 0x4
	s_lshl_b64 s[22:23], s[16:17], 3
	v_mov_b32_e32 v1, v0
	s_add_u32 s26, s2, s22
	s_addc_u32 s27, s3, s23
	s_mov_b32 s29, 0
	s_waitcnt lgkmcnt(0)
	s_mul_i32 s28, s28, s24
	s_branch .LBB3_6
.LBB3_5:                                ;   in Loop: Header=BB3_6 Depth=2
	s_inst_prefetch 0x2
	v_add_nc_u32_e32 v1, s28, v1
	v_cmp_le_u32_e32 vcc_lo, s9, v1
	s_or_b32 s29, vcc_lo, s29
	s_andn2_b32 exec_lo, exec_lo, s29
	s_cbranch_execz .LBB3_2
.LBB3_6:                                ;   Parent Loop BB3_3 Depth=1
                                        ; =>  This Loop Header: Depth=2
                                        ;       Child Loop BB3_8 Depth 3
	s_andn2_b32 vcc_lo, exec_lo, s7
	s_cbranch_vccnz .LBB3_5
; %bb.7:                                ;   in Loop: Header=BB3_6 Depth=2
	v_lshlrev_b64 v[3:4], 3, v[1:2]
	v_add_co_u32 v7, s22, s16, v1
	v_mov_b32_e32 v5, 0
	v_add_co_ci_u32_e64 v8, null, 0, 0, s22
	v_add_co_u32 v3, vcc_lo, s26, v3
	v_add_co_ci_u32_e64 v4, null, s27, v4, vcc_lo
	v_mov_b32_e32 v6, 0
	v_mov_b32_e32 v9, s11
	s_mov_b64 s[22:23], 0
	s_inst_prefetch 0x1
	.p2align	6
.LBB3_8:                                ;   Parent Loop BB3_3 Depth=1
                                        ;     Parent Loop BB3_6 Depth=2
                                        ; =>    This Inner Loop Header: Depth=3
	v_add_co_u32 v10, vcc_lo, s12, v7
	v_add_co_ci_u32_e64 v11, null, s13, v8, vcc_lo
	v_bfe_i32 v9, v9, 0, 8
	global_load_sbyte v12, v[10:11], off
	v_add_co_u32 v10, vcc_lo, s14, v7
	v_add_co_ci_u32_e64 v11, null, s15, v8, vcc_lo
	v_add_co_u32 v7, vcc_lo, v7, s18
	v_add_co_ci_u32_e64 v8, null, 0, v8, vcc_lo
	s_waitcnt vmcnt(0)
	v_cmp_lt_i16_e32 vcc_lo, v12, v9
	v_max_i16 v9, v12, v9
	v_cndmask_b32_e32 v6, s23, v6, vcc_lo
	v_cndmask_b32_e32 v5, s22, v5, vcc_lo
	global_store_byte v[10:11], v9, off
	s_add_u32 s22, s22, 1
	s_addc_u32 s23, s23, 0
	s_cmp_eq_u32 s10, s22
	global_store_dwordx2 v[3:4], v[5:6], off
	v_add_co_u32 v3, vcc_lo, v3, s20
	v_add_co_ci_u32_e64 v4, null, s21, v4, vcc_lo
	s_cbranch_scc0 .LBB3_8
	s_branch .LBB3_5
.LBB3_9:
	s_endpgm
	.section	.rodata,"a",@progbits
	.p2align	6, 0x0
	.amdhsa_kernel _ZN2at6native41tensor_kernel_scan_outer_dim_with_indicesIaSt13greater_equalIaEEEvPKT_PS4_PljjjS4_T0_
		.amdhsa_group_segment_fixed_size 0
		.amdhsa_private_segment_fixed_size 0
		.amdhsa_kernarg_size 296
		.amdhsa_user_sgpr_count 6
		.amdhsa_user_sgpr_private_segment_buffer 1
		.amdhsa_user_sgpr_dispatch_ptr 0
		.amdhsa_user_sgpr_queue_ptr 0
		.amdhsa_user_sgpr_kernarg_segment_ptr 1
		.amdhsa_user_sgpr_dispatch_id 0
		.amdhsa_user_sgpr_flat_scratch_init 0
		.amdhsa_user_sgpr_private_segment_size 0
		.amdhsa_wavefront_size32 1
		.amdhsa_uses_dynamic_stack 0
		.amdhsa_system_sgpr_private_segment_wavefront_offset 0
		.amdhsa_system_sgpr_workgroup_id_x 1
		.amdhsa_system_sgpr_workgroup_id_y 1
		.amdhsa_system_sgpr_workgroup_id_z 0
		.amdhsa_system_sgpr_workgroup_info 0
		.amdhsa_system_vgpr_workitem_id 0
		.amdhsa_next_free_vgpr 13
		.amdhsa_next_free_sgpr 30
		.amdhsa_reserve_vcc 1
		.amdhsa_reserve_flat_scratch 0
		.amdhsa_float_round_mode_32 0
		.amdhsa_float_round_mode_16_64 0
		.amdhsa_float_denorm_mode_32 3
		.amdhsa_float_denorm_mode_16_64 3
		.amdhsa_dx10_clamp 1
		.amdhsa_ieee_mode 1
		.amdhsa_fp16_overflow 0
		.amdhsa_workgroup_processor_mode 1
		.amdhsa_memory_ordered 1
		.amdhsa_forward_progress 1
		.amdhsa_shared_vgpr_count 0
		.amdhsa_exception_fp_ieee_invalid_op 0
		.amdhsa_exception_fp_denorm_src 0
		.amdhsa_exception_fp_ieee_div_zero 0
		.amdhsa_exception_fp_ieee_overflow 0
		.amdhsa_exception_fp_ieee_underflow 0
		.amdhsa_exception_fp_ieee_inexact 0
		.amdhsa_exception_int_div_zero 0
	.end_amdhsa_kernel
	.section	.text._ZN2at6native41tensor_kernel_scan_outer_dim_with_indicesIaSt13greater_equalIaEEEvPKT_PS4_PljjjS4_T0_,"axG",@progbits,_ZN2at6native41tensor_kernel_scan_outer_dim_with_indicesIaSt13greater_equalIaEEEvPKT_PS4_PljjjS4_T0_,comdat
.Lfunc_end3:
	.size	_ZN2at6native41tensor_kernel_scan_outer_dim_with_indicesIaSt13greater_equalIaEEEvPKT_PS4_PljjjS4_T0_, .Lfunc_end3-_ZN2at6native41tensor_kernel_scan_outer_dim_with_indicesIaSt13greater_equalIaEEEvPKT_PS4_PljjjS4_T0_
                                        ; -- End function
	.set _ZN2at6native41tensor_kernel_scan_outer_dim_with_indicesIaSt13greater_equalIaEEEvPKT_PS4_PljjjS4_T0_.num_vgpr, 13
	.set _ZN2at6native41tensor_kernel_scan_outer_dim_with_indicesIaSt13greater_equalIaEEEvPKT_PS4_PljjjS4_T0_.num_agpr, 0
	.set _ZN2at6native41tensor_kernel_scan_outer_dim_with_indicesIaSt13greater_equalIaEEEvPKT_PS4_PljjjS4_T0_.numbered_sgpr, 30
	.set _ZN2at6native41tensor_kernel_scan_outer_dim_with_indicesIaSt13greater_equalIaEEEvPKT_PS4_PljjjS4_T0_.num_named_barrier, 0
	.set _ZN2at6native41tensor_kernel_scan_outer_dim_with_indicesIaSt13greater_equalIaEEEvPKT_PS4_PljjjS4_T0_.private_seg_size, 0
	.set _ZN2at6native41tensor_kernel_scan_outer_dim_with_indicesIaSt13greater_equalIaEEEvPKT_PS4_PljjjS4_T0_.uses_vcc, 1
	.set _ZN2at6native41tensor_kernel_scan_outer_dim_with_indicesIaSt13greater_equalIaEEEvPKT_PS4_PljjjS4_T0_.uses_flat_scratch, 0
	.set _ZN2at6native41tensor_kernel_scan_outer_dim_with_indicesIaSt13greater_equalIaEEEvPKT_PS4_PljjjS4_T0_.has_dyn_sized_stack, 0
	.set _ZN2at6native41tensor_kernel_scan_outer_dim_with_indicesIaSt13greater_equalIaEEEvPKT_PS4_PljjjS4_T0_.has_recursion, 0
	.set _ZN2at6native41tensor_kernel_scan_outer_dim_with_indicesIaSt13greater_equalIaEEEvPKT_PS4_PljjjS4_T0_.has_indirect_call, 0
	.section	.AMDGPU.csdata,"",@progbits
; Kernel info:
; codeLenInByte = 464
; TotalNumSgprs: 32
; NumVgprs: 13
; ScratchSize: 0
; MemoryBound: 0
; FloatMode: 240
; IeeeMode: 1
; LDSByteSize: 0 bytes/workgroup (compile time only)
; SGPRBlocks: 0
; VGPRBlocks: 1
; NumSGPRsForWavesPerEU: 32
; NumVGPRsForWavesPerEU: 13
; Occupancy: 16
; WaveLimiterHint : 0
; COMPUTE_PGM_RSRC2:SCRATCH_EN: 0
; COMPUTE_PGM_RSRC2:USER_SGPR: 6
; COMPUTE_PGM_RSRC2:TRAP_HANDLER: 0
; COMPUTE_PGM_RSRC2:TGID_X_EN: 1
; COMPUTE_PGM_RSRC2:TGID_Y_EN: 1
; COMPUTE_PGM_RSRC2:TGID_Z_EN: 0
; COMPUTE_PGM_RSRC2:TIDIG_COMP_CNT: 0
	.section	.text._ZN2at6native45tensor_kernel_scan_innermost_dim_with_indicesIiSt13greater_equalIiEEEvPKT_PS4_PliijjS4_T0_,"axG",@progbits,_ZN2at6native45tensor_kernel_scan_innermost_dim_with_indicesIiSt13greater_equalIiEEEvPKT_PS4_PliijjS4_T0_,comdat
	.protected	_ZN2at6native45tensor_kernel_scan_innermost_dim_with_indicesIiSt13greater_equalIiEEEvPKT_PS4_PliijjS4_T0_ ; -- Begin function _ZN2at6native45tensor_kernel_scan_innermost_dim_with_indicesIiSt13greater_equalIiEEEvPKT_PS4_PliijjS4_T0_
	.globl	_ZN2at6native45tensor_kernel_scan_innermost_dim_with_indicesIiSt13greater_equalIiEEEvPKT_PS4_PliijjS4_T0_
	.p2align	8
	.type	_ZN2at6native45tensor_kernel_scan_innermost_dim_with_indicesIiSt13greater_equalIiEEEvPKT_PS4_PliijjS4_T0_,@function
_ZN2at6native45tensor_kernel_scan_innermost_dim_with_indicesIiSt13greater_equalIiEEEvPKT_PS4_PliijjS4_T0_: ; @_ZN2at6native45tensor_kernel_scan_innermost_dim_with_indicesIiSt13greater_equalIiEEEvPKT_PS4_PliijjS4_T0_
; %bb.0:
	s_clause 0x1
	s_load_dword s2, s[4:5], 0x3c
	s_load_dwordx4 s[8:11], s[4:5], 0x18
	s_add_u32 s0, s4, 48
	s_addc_u32 s1, s5, 0
	s_waitcnt lgkmcnt(0)
	s_lshr_b32 s2, s2, 16
	s_mul_i32 s3, s6, s2
	s_cmp_ge_i32 s3, s8
	s_cbranch_scc1 .LBB4_31
; %bb.1:
	s_lshl_b32 s6, 2, s11
	s_clause 0x2
	s_load_dword s7, s[4:5], 0x28
	s_load_dwordx4 s[12:15], s[4:5], 0x0
	s_load_dwordx2 s[4:5], s[4:5], 0x10
	s_load_dword s16, s[0:1], 0x0
	v_mul_lo_u32 v2, s6, v1
	s_lshl_b32 s0, s10, 3
	s_lshl_b32 s10, 1, s11
	s_cmp_gt_i32 s9, 0
	s_cselect_b32 s11, -1, 0
	s_add_i32 s1, s6, -1
	v_lshlrev_b32_e32 v3, 3, v2
	v_lshl_add_u32 v8, v2, 2, 0
	v_add3_u32 v9, 0, s0, v3
	v_lshl_add_u32 v10, v0, 2, v8
	v_cmp_eq_u32_e64 s0, 0, v0
	v_lshl_add_u32 v12, s1, 2, v8
	v_lshl_add_u32 v11, v0, 3, v9
	;; [unrolled: 1-line block ×4, first 2 shown]
	s_waitcnt lgkmcnt(0)
	s_mul_i32 s16, s16, s2
	v_lshl_add_u32 v15, s10, 3, v11
	s_branch .LBB4_3
.LBB4_2:                                ;   in Loop: Header=BB4_3 Depth=1
	s_add_i32 s3, s16, s3
	s_cmp_ge_i32 s3, s8
	s_cbranch_scc1 .LBB4_31
.LBB4_3:                                ; =>This Loop Header: Depth=1
                                        ;     Child Loop BB4_6 Depth 2
                                        ;       Child Loop BB4_21 Depth 3
	s_andn2_b32 vcc_lo, exec_lo, s11
	s_cbranch_vccnz .LBB4_2
; %bb.4:                                ;   in Loop: Header=BB4_3 Depth=1
	v_add_nc_u32_e32 v16, s3, v1
	v_mov_b32_e32 v6, 0
	v_mov_b32_e32 v7, 0
	;; [unrolled: 1-line block ×3, first 2 shown]
	s_mov_b32 s17, 0
	v_mul_lo_u32 v2, v16, s9
	v_cmp_gt_i32_e32 vcc_lo, s8, v16
	v_cmp_le_i32_e64 s1, s8, v16
	v_ashrrev_i32_e32 v3, 31, v2
	v_lshlrev_b64 v[4:5], 2, v[2:3]
	v_lshlrev_b64 v[2:3], 3, v[2:3]
	v_add_co_u32 v16, s2, s12, v4
	v_add_co_ci_u32_e64 v17, null, s13, v5, s2
	v_add_co_u32 v18, s2, s14, v4
	v_add_co_ci_u32_e64 v19, null, s15, v5, s2
	;; [unrolled: 2-line block ×3, first 2 shown]
	s_branch .LBB4_6
.LBB4_5:                                ;   in Loop: Header=BB4_6 Depth=2
	s_or_b32 exec_lo, exec_lo, s18
	ds_read_b32 v22, v12
	ds_read_b64 v[6:7], v14
	s_add_i32 s17, s17, s6
	s_waitcnt lgkmcnt(0)
	s_waitcnt_vscnt null, 0x0
	s_cmp_ge_i32 s17, s9
	s_barrier
	buffer_gl0_inv
	s_cbranch_scc1 .LBB4_2
.LBB4_6:                                ;   Parent Loop BB4_3 Depth=1
                                        ; =>  This Loop Header: Depth=2
                                        ;       Child Loop BB4_21 Depth 3
	v_add_nc_u32_e32 v4, s17, v0
	v_add_nc_u32_e32 v2, s10, v4
	s_and_saveexec_b32 s18, vcc_lo
	s_cbranch_execz .LBB4_18
; %bb.7:                                ;   in Loop: Header=BB4_6 Depth=2
	v_cmp_le_i32_e64 s2, s9, v4
	s_and_saveexec_b32 s19, s2
	s_xor_b32 s2, exec_lo, s19
; %bb.8:                                ;   in Loop: Header=BB4_6 Depth=2
	v_mov_b32_e32 v3, s7
	ds_write_b32 v10, v3
; %bb.9:                                ;   in Loop: Header=BB4_6 Depth=2
	s_andn2_saveexec_b32 s19, s2
	s_cbranch_execz .LBB4_11
; %bb.10:                               ;   in Loop: Header=BB4_6 Depth=2
	v_ashrrev_i32_e32 v5, 31, v4
	v_lshlrev_b64 v[23:24], 2, v[4:5]
	v_add_co_u32 v23, s2, v16, v23
	v_add_co_ci_u32_e64 v24, null, v17, v24, s2
	global_load_dword v3, v[23:24], off
	s_waitcnt vmcnt(0)
	ds_write_b32 v10, v3
	ds_write_b64 v11, v[4:5]
.LBB4_11:                               ;   in Loop: Header=BB4_6 Depth=2
	s_or_b32 exec_lo, exec_lo, s19
	v_cmp_le_i32_e64 s2, s9, v2
	s_and_saveexec_b32 s19, s2
	s_xor_b32 s2, exec_lo, s19
	s_cbranch_execnz .LBB4_14
; %bb.12:                               ;   in Loop: Header=BB4_6 Depth=2
	s_andn2_saveexec_b32 s19, s2
	s_cbranch_execnz .LBB4_15
.LBB4_13:                               ;   in Loop: Header=BB4_6 Depth=2
	s_or_b32 exec_lo, exec_lo, s19
	s_and_b32 exec_lo, exec_lo, s0
	s_cbranch_execnz .LBB4_16
	s_branch .LBB4_18
.LBB4_14:                               ;   in Loop: Header=BB4_6 Depth=2
	v_mov_b32_e32 v3, s7
	ds_write_b32 v13, v3
	s_andn2_saveexec_b32 s19, s2
	s_cbranch_execz .LBB4_13
.LBB4_15:                               ;   in Loop: Header=BB4_6 Depth=2
	v_ashrrev_i32_e32 v3, 31, v2
	v_lshlrev_b64 v[23:24], 2, v[2:3]
	v_add_co_u32 v23, s2, v16, v23
	v_add_co_ci_u32_e64 v24, null, v17, v24, s2
	global_load_dword v5, v[23:24], off
	s_waitcnt vmcnt(0)
	ds_write_b32 v13, v5
	ds_write_b64 v15, v[2:3]
	s_or_b32 exec_lo, exec_lo, s19
	s_and_b32 exec_lo, exec_lo, s0
	s_cbranch_execz .LBB4_18
.LBB4_16:                               ;   in Loop: Header=BB4_6 Depth=2
	ds_read_b32 v3, v8
	s_waitcnt lgkmcnt(0)
	v_cmp_lt_i32_e64 s2, v3, v22
	s_and_b32 exec_lo, exec_lo, s2
	s_cbranch_execz .LBB4_18
; %bb.17:                               ;   in Loop: Header=BB4_6 Depth=2
	ds_write_b32 v8, v22
	ds_write_b64 v9, v[6:7]
.LBB4_18:                               ;   in Loop: Header=BB4_6 Depth=2
	s_or_b32 exec_lo, exec_lo, s18
	v_mov_b32_e32 v3, 1
	s_mov_b32 s18, 0
	s_waitcnt lgkmcnt(0)
	s_barrier
	buffer_gl0_inv
	s_inst_prefetch 0x1
	s_branch .LBB4_21
	.p2align	6
.LBB4_19:                               ;   in Loop: Header=BB4_21 Depth=3
	s_or_b32 exec_lo, exec_lo, s20
	v_mov_b32_e32 v3, v5
.LBB4_20:                               ;   in Loop: Header=BB4_21 Depth=3
	s_or_b32 exec_lo, exec_lo, s19
	v_cmp_lt_u32_e64 s2, s10, v3
	s_waitcnt lgkmcnt(0)
	s_barrier
	buffer_gl0_inv
	s_or_b32 s18, s2, s18
	s_andn2_b32 exec_lo, exec_lo, s18
	s_cbranch_execz .LBB4_26
.LBB4_21:                               ;   Parent Loop BB4_3 Depth=1
                                        ;     Parent Loop BB4_6 Depth=2
                                        ; =>    This Inner Loop Header: Depth=3
	v_lshlrev_b32_e32 v5, 1, v3
	s_and_saveexec_b32 s2, s1
	s_xor_b32 s2, exec_lo, s2
; %bb.22:                               ;   in Loop: Header=BB4_21 Depth=3
	v_lshlrev_b32_e32 v3, 1, v3
                                        ; implicit-def: $vgpr5
; %bb.23:                               ;   in Loop: Header=BB4_21 Depth=3
	s_andn2_saveexec_b32 s19, s2
	s_cbranch_execz .LBB4_20
; %bb.24:                               ;   in Loop: Header=BB4_21 Depth=3
	v_ffbl_b32_e32 v6, v3
	v_add_nc_u32_e32 v7, -1, v3
	s_mov_b32 s20, exec_lo
	v_lshrrev_b32_e32 v6, v6, v0
	v_mad_u64_u32 v[22:23], null, v5, v6, v[3:4]
	v_and_b32_e32 v3, v7, v0
	v_add_nc_u32_e32 v6, -1, v22
	v_add_nc_u32_e32 v3, v22, v3
	v_lshl_add_u32 v22, v6, 2, v8
	v_lshl_add_u32 v7, v3, 2, v8
	ds_read_b32 v22, v22
	ds_read_b32 v23, v7
	s_waitcnt lgkmcnt(0)
	v_cmpx_lt_i32_e64 v23, v22
	s_cbranch_execz .LBB4_19
; %bb.25:                               ;   in Loop: Header=BB4_21 Depth=3
	v_lshl_add_u32 v6, v6, 3, v9
	v_lshl_add_u32 v3, v3, 3, v9
	ds_read_b64 v[23:24], v6
	ds_write_b32 v7, v22
	s_waitcnt lgkmcnt(1)
	ds_write_b64 v3, v[23:24]
	s_branch .LBB4_19
.LBB4_26:                               ;   in Loop: Header=BB4_6 Depth=2
	s_inst_prefetch 0x2
	s_or_b32 exec_lo, exec_lo, s18
	s_and_saveexec_b32 s18, vcc_lo
	s_cbranch_execz .LBB4_5
; %bb.27:                               ;   in Loop: Header=BB4_6 Depth=2
	s_mov_b32 s19, exec_lo
	v_cmpx_gt_i32_e64 s9, v4
	s_cbranch_execz .LBB4_29
; %bb.28:                               ;   in Loop: Header=BB4_6 Depth=2
	ds_read_b32 v24, v10
	ds_read_b64 v[6:7], v11
	v_ashrrev_i32_e32 v5, 31, v4
	v_lshlrev_b64 v[22:23], 2, v[4:5]
	v_lshlrev_b64 v[3:4], 3, v[4:5]
	v_add_co_u32 v22, s2, v18, v22
	v_add_co_ci_u32_e64 v23, null, v19, v23, s2
	v_add_co_u32 v3, s2, v20, v3
	v_add_co_ci_u32_e64 v4, null, v21, v4, s2
	s_waitcnt lgkmcnt(1)
	global_store_dword v[22:23], v24, off
	s_waitcnt lgkmcnt(0)
	global_store_dwordx2 v[3:4], v[6:7], off
.LBB4_29:                               ;   in Loop: Header=BB4_6 Depth=2
	s_or_b32 exec_lo, exec_lo, s19
	v_cmp_gt_i32_e64 s2, s9, v2
	s_and_b32 exec_lo, exec_lo, s2
	s_cbranch_execz .LBB4_5
; %bb.30:                               ;   in Loop: Header=BB4_6 Depth=2
	ds_read_b32 v22, v13
	ds_read_b64 v[4:5], v15
	v_ashrrev_i32_e32 v3, 31, v2
	v_lshlrev_b64 v[6:7], 2, v[2:3]
	v_lshlrev_b64 v[2:3], 3, v[2:3]
	v_add_co_u32 v6, s2, v18, v6
	v_add_co_ci_u32_e64 v7, null, v19, v7, s2
	v_add_co_u32 v2, s2, v20, v2
	v_add_co_ci_u32_e64 v3, null, v21, v3, s2
	s_waitcnt lgkmcnt(1)
	global_store_dword v[6:7], v22, off
	s_waitcnt lgkmcnt(0)
	global_store_dwordx2 v[2:3], v[4:5], off
	s_branch .LBB4_5
.LBB4_31:
	s_endpgm
	.section	.rodata,"a",@progbits
	.p2align	6, 0x0
	.amdhsa_kernel _ZN2at6native45tensor_kernel_scan_innermost_dim_with_indicesIiSt13greater_equalIiEEEvPKT_PS4_PliijjS4_T0_
		.amdhsa_group_segment_fixed_size 0
		.amdhsa_private_segment_fixed_size 0
		.amdhsa_kernarg_size 304
		.amdhsa_user_sgpr_count 6
		.amdhsa_user_sgpr_private_segment_buffer 1
		.amdhsa_user_sgpr_dispatch_ptr 0
		.amdhsa_user_sgpr_queue_ptr 0
		.amdhsa_user_sgpr_kernarg_segment_ptr 1
		.amdhsa_user_sgpr_dispatch_id 0
		.amdhsa_user_sgpr_flat_scratch_init 0
		.amdhsa_user_sgpr_private_segment_size 0
		.amdhsa_wavefront_size32 1
		.amdhsa_uses_dynamic_stack 0
		.amdhsa_system_sgpr_private_segment_wavefront_offset 0
		.amdhsa_system_sgpr_workgroup_id_x 1
		.amdhsa_system_sgpr_workgroup_id_y 0
		.amdhsa_system_sgpr_workgroup_id_z 0
		.amdhsa_system_sgpr_workgroup_info 0
		.amdhsa_system_vgpr_workitem_id 1
		.amdhsa_next_free_vgpr 25
		.amdhsa_next_free_sgpr 21
		.amdhsa_reserve_vcc 1
		.amdhsa_reserve_flat_scratch 0
		.amdhsa_float_round_mode_32 0
		.amdhsa_float_round_mode_16_64 0
		.amdhsa_float_denorm_mode_32 3
		.amdhsa_float_denorm_mode_16_64 3
		.amdhsa_dx10_clamp 1
		.amdhsa_ieee_mode 1
		.amdhsa_fp16_overflow 0
		.amdhsa_workgroup_processor_mode 1
		.amdhsa_memory_ordered 1
		.amdhsa_forward_progress 1
		.amdhsa_shared_vgpr_count 0
		.amdhsa_exception_fp_ieee_invalid_op 0
		.amdhsa_exception_fp_denorm_src 0
		.amdhsa_exception_fp_ieee_div_zero 0
		.amdhsa_exception_fp_ieee_overflow 0
		.amdhsa_exception_fp_ieee_underflow 0
		.amdhsa_exception_fp_ieee_inexact 0
		.amdhsa_exception_int_div_zero 0
	.end_amdhsa_kernel
	.section	.text._ZN2at6native45tensor_kernel_scan_innermost_dim_with_indicesIiSt13greater_equalIiEEEvPKT_PS4_PliijjS4_T0_,"axG",@progbits,_ZN2at6native45tensor_kernel_scan_innermost_dim_with_indicesIiSt13greater_equalIiEEEvPKT_PS4_PliijjS4_T0_,comdat
.Lfunc_end4:
	.size	_ZN2at6native45tensor_kernel_scan_innermost_dim_with_indicesIiSt13greater_equalIiEEEvPKT_PS4_PliijjS4_T0_, .Lfunc_end4-_ZN2at6native45tensor_kernel_scan_innermost_dim_with_indicesIiSt13greater_equalIiEEEvPKT_PS4_PliijjS4_T0_
                                        ; -- End function
	.set _ZN2at6native45tensor_kernel_scan_innermost_dim_with_indicesIiSt13greater_equalIiEEEvPKT_PS4_PliijjS4_T0_.num_vgpr, 25
	.set _ZN2at6native45tensor_kernel_scan_innermost_dim_with_indicesIiSt13greater_equalIiEEEvPKT_PS4_PliijjS4_T0_.num_agpr, 0
	.set _ZN2at6native45tensor_kernel_scan_innermost_dim_with_indicesIiSt13greater_equalIiEEEvPKT_PS4_PliijjS4_T0_.numbered_sgpr, 21
	.set _ZN2at6native45tensor_kernel_scan_innermost_dim_with_indicesIiSt13greater_equalIiEEEvPKT_PS4_PliijjS4_T0_.num_named_barrier, 0
	.set _ZN2at6native45tensor_kernel_scan_innermost_dim_with_indicesIiSt13greater_equalIiEEEvPKT_PS4_PliijjS4_T0_.private_seg_size, 0
	.set _ZN2at6native45tensor_kernel_scan_innermost_dim_with_indicesIiSt13greater_equalIiEEEvPKT_PS4_PliijjS4_T0_.uses_vcc, 1
	.set _ZN2at6native45tensor_kernel_scan_innermost_dim_with_indicesIiSt13greater_equalIiEEEvPKT_PS4_PliijjS4_T0_.uses_flat_scratch, 0
	.set _ZN2at6native45tensor_kernel_scan_innermost_dim_with_indicesIiSt13greater_equalIiEEEvPKT_PS4_PliijjS4_T0_.has_dyn_sized_stack, 0
	.set _ZN2at6native45tensor_kernel_scan_innermost_dim_with_indicesIiSt13greater_equalIiEEEvPKT_PS4_PliijjS4_T0_.has_recursion, 0
	.set _ZN2at6native45tensor_kernel_scan_innermost_dim_with_indicesIiSt13greater_equalIiEEEvPKT_PS4_PliijjS4_T0_.has_indirect_call, 0
	.section	.AMDGPU.csdata,"",@progbits
; Kernel info:
; codeLenInByte = 1216
; TotalNumSgprs: 23
; NumVgprs: 25
; ScratchSize: 0
; MemoryBound: 0
; FloatMode: 240
; IeeeMode: 1
; LDSByteSize: 0 bytes/workgroup (compile time only)
; SGPRBlocks: 0
; VGPRBlocks: 3
; NumSGPRsForWavesPerEU: 23
; NumVGPRsForWavesPerEU: 25
; Occupancy: 16
; WaveLimiterHint : 0
; COMPUTE_PGM_RSRC2:SCRATCH_EN: 0
; COMPUTE_PGM_RSRC2:USER_SGPR: 6
; COMPUTE_PGM_RSRC2:TRAP_HANDLER: 0
; COMPUTE_PGM_RSRC2:TGID_X_EN: 1
; COMPUTE_PGM_RSRC2:TGID_Y_EN: 0
; COMPUTE_PGM_RSRC2:TGID_Z_EN: 0
; COMPUTE_PGM_RSRC2:TIDIG_COMP_CNT: 1
	.section	.text._ZN2at6native41tensor_kernel_scan_outer_dim_with_indicesIiSt13greater_equalIiEEEvPKT_PS4_PljjjS4_T0_,"axG",@progbits,_ZN2at6native41tensor_kernel_scan_outer_dim_with_indicesIiSt13greater_equalIiEEEvPKT_PS4_PljjjS4_T0_,comdat
	.protected	_ZN2at6native41tensor_kernel_scan_outer_dim_with_indicesIiSt13greater_equalIiEEEvPKT_PS4_PljjjS4_T0_ ; -- Begin function _ZN2at6native41tensor_kernel_scan_outer_dim_with_indicesIiSt13greater_equalIiEEEvPKT_PS4_PljjjS4_T0_
	.globl	_ZN2at6native41tensor_kernel_scan_outer_dim_with_indicesIiSt13greater_equalIiEEEvPKT_PS4_PljjjS4_T0_
	.p2align	8
	.type	_ZN2at6native41tensor_kernel_scan_outer_dim_with_indicesIiSt13greater_equalIiEEEvPKT_PS4_PljjjS4_T0_,@function
_ZN2at6native41tensor_kernel_scan_outer_dim_with_indicesIiSt13greater_equalIiEEEvPKT_PS4_PljjjS4_T0_: ; @_ZN2at6native41tensor_kernel_scan_outer_dim_with_indicesIiSt13greater_equalIiEEEvPKT_PS4_PljjjS4_T0_
; %bb.0:
	s_load_dwordx4 s[8:11], s[4:5], 0x18
	s_waitcnt lgkmcnt(0)
	s_cmp_ge_u32 s6, s8
	s_cbranch_scc1 .LBB5_9
; %bb.1:
	s_clause 0x3
	s_load_dword s0, s[4:5], 0x3c
	s_load_dword s1, s[4:5], 0x30
	s_load_dwordx4 s[12:15], s[4:5], 0x0
	s_load_dwordx2 s[2:3], s[4:5], 0x10
	s_add_u32 s4, s4, 48
	s_addc_u32 s5, s5, 0
	s_mul_i32 s18, s6, s10
	v_mov_b32_e32 v2, 0
	s_mov_b32 s17, 0
	s_mov_b32 s16, s9
	s_mul_i32 s22, s18, s9
	s_waitcnt lgkmcnt(0)
	s_and_b32 s26, s0, 0xffff
	s_cmp_lg_u32 s10, 0
	v_mad_u64_u32 v[0:1], null, s7, s26, v[0:1]
	s_mul_i32 s7, s1, s10
	s_cselect_b32 s27, -1, 0
	s_mul_i32 s7, s7, s9
	s_lshl_b64 s[18:19], s[16:17], 3
	s_lshl_b64 s[20:21], s[16:17], 2
	s_mov_b32 s16, s22
	v_cmp_gt_u32_e64 s0, s9, v0
	s_branch .LBB5_3
.LBB5_2:                                ;   in Loop: Header=BB5_3 Depth=1
	s_or_b32 exec_lo, exec_lo, s28
	s_add_i32 s6, s1, s6
	s_add_i32 s16, s16, s7
	s_cmp_ge_u32 s6, s8
	s_cbranch_scc1 .LBB5_9
.LBB5_3:                                ; =>This Loop Header: Depth=1
                                        ;     Child Loop BB5_6 Depth 2
                                        ;       Child Loop BB5_8 Depth 3
	s_and_saveexec_b32 s28, s0
	s_cbranch_execz .LBB5_2
; %bb.4:                                ;   in Loop: Header=BB5_3 Depth=1
	s_load_dword s31, s[4:5], 0x4
	s_lshl_b64 s[24:25], s[16:17], 3
	v_mov_b32_e32 v1, v0
	s_lshl_b64 s[22:23], s[16:17], 2
	s_add_u32 s29, s2, s24
	s_addc_u32 s30, s3, s25
	s_mov_b32 s33, 0
	s_waitcnt lgkmcnt(0)
	s_mul_i32 s31, s31, s26
	s_branch .LBB5_6
.LBB5_5:                                ;   in Loop: Header=BB5_6 Depth=2
	v_add_nc_u32_e32 v1, s31, v1
	v_cmp_le_u32_e32 vcc_lo, s9, v1
	s_or_b32 s33, vcc_lo, s33
	s_andn2_b32 exec_lo, exec_lo, s33
	s_cbranch_execz .LBB5_2
.LBB5_6:                                ;   Parent Loop BB5_3 Depth=1
                                        ; =>  This Loop Header: Depth=2
                                        ;       Child Loop BB5_8 Depth 3
	s_andn2_b32 vcc_lo, exec_lo, s27
	s_cbranch_vccnz .LBB5_5
; %bb.7:                                ;   in Loop: Header=BB5_6 Depth=2
	v_lshlrev_b64 v[3:4], 3, v[1:2]
	v_lshlrev_b64 v[5:6], 2, v[1:2]
	v_mov_b32_e32 v9, s11
	s_mov_b64 s[24:25], 0
	v_add_co_u32 v3, vcc_lo, s29, v3
	v_add_co_ci_u32_e64 v4, null, s30, v4, vcc_lo
	v_add_co_u32 v7, vcc_lo, s22, v5
	v_add_co_ci_u32_e64 v8, null, s23, v6, vcc_lo
	v_mov_b32_e32 v5, 0
	v_mov_b32_e32 v6, 0
	.p2align	6
.LBB5_8:                                ;   Parent Loop BB5_3 Depth=1
                                        ;     Parent Loop BB5_6 Depth=2
                                        ; =>    This Inner Loop Header: Depth=3
	v_add_co_u32 v10, vcc_lo, s12, v7
	v_add_co_ci_u32_e64 v11, null, s13, v8, vcc_lo
	global_load_dword v12, v[10:11], off
	v_add_co_u32 v10, vcc_lo, s14, v7
	v_add_co_ci_u32_e64 v11, null, s15, v8, vcc_lo
	v_add_co_u32 v7, vcc_lo, v7, s20
	v_add_co_ci_u32_e64 v8, null, s21, v8, vcc_lo
	s_waitcnt vmcnt(0)
	v_cmp_lt_i32_e32 vcc_lo, v12, v9
	v_max_i32_e32 v9, v12, v9
	v_cndmask_b32_e32 v6, s25, v6, vcc_lo
	v_cndmask_b32_e32 v5, s24, v5, vcc_lo
	s_add_u32 s24, s24, 1
	s_addc_u32 s25, s25, 0
	s_cmp_eq_u32 s10, s24
	global_store_dword v[10:11], v9, off
	global_store_dwordx2 v[3:4], v[5:6], off
	v_add_co_u32 v3, vcc_lo, v3, s18
	v_add_co_ci_u32_e64 v4, null, s19, v4, vcc_lo
	s_cbranch_scc0 .LBB5_8
	s_branch .LBB5_5
.LBB5_9:
	s_endpgm
	.section	.rodata,"a",@progbits
	.p2align	6, 0x0
	.amdhsa_kernel _ZN2at6native41tensor_kernel_scan_outer_dim_with_indicesIiSt13greater_equalIiEEEvPKT_PS4_PljjjS4_T0_
		.amdhsa_group_segment_fixed_size 0
		.amdhsa_private_segment_fixed_size 0
		.amdhsa_kernarg_size 304
		.amdhsa_user_sgpr_count 6
		.amdhsa_user_sgpr_private_segment_buffer 1
		.amdhsa_user_sgpr_dispatch_ptr 0
		.amdhsa_user_sgpr_queue_ptr 0
		.amdhsa_user_sgpr_kernarg_segment_ptr 1
		.amdhsa_user_sgpr_dispatch_id 0
		.amdhsa_user_sgpr_flat_scratch_init 0
		.amdhsa_user_sgpr_private_segment_size 0
		.amdhsa_wavefront_size32 1
		.amdhsa_uses_dynamic_stack 0
		.amdhsa_system_sgpr_private_segment_wavefront_offset 0
		.amdhsa_system_sgpr_workgroup_id_x 1
		.amdhsa_system_sgpr_workgroup_id_y 1
		.amdhsa_system_sgpr_workgroup_id_z 0
		.amdhsa_system_sgpr_workgroup_info 0
		.amdhsa_system_vgpr_workitem_id 0
		.amdhsa_next_free_vgpr 13
		.amdhsa_next_free_sgpr 34
		.amdhsa_reserve_vcc 1
		.amdhsa_reserve_flat_scratch 0
		.amdhsa_float_round_mode_32 0
		.amdhsa_float_round_mode_16_64 0
		.amdhsa_float_denorm_mode_32 3
		.amdhsa_float_denorm_mode_16_64 3
		.amdhsa_dx10_clamp 1
		.amdhsa_ieee_mode 1
		.amdhsa_fp16_overflow 0
		.amdhsa_workgroup_processor_mode 1
		.amdhsa_memory_ordered 1
		.amdhsa_forward_progress 1
		.amdhsa_shared_vgpr_count 0
		.amdhsa_exception_fp_ieee_invalid_op 0
		.amdhsa_exception_fp_denorm_src 0
		.amdhsa_exception_fp_ieee_div_zero 0
		.amdhsa_exception_fp_ieee_overflow 0
		.amdhsa_exception_fp_ieee_underflow 0
		.amdhsa_exception_fp_ieee_inexact 0
		.amdhsa_exception_int_div_zero 0
	.end_amdhsa_kernel
	.section	.text._ZN2at6native41tensor_kernel_scan_outer_dim_with_indicesIiSt13greater_equalIiEEEvPKT_PS4_PljjjS4_T0_,"axG",@progbits,_ZN2at6native41tensor_kernel_scan_outer_dim_with_indicesIiSt13greater_equalIiEEEvPKT_PS4_PljjjS4_T0_,comdat
.Lfunc_end5:
	.size	_ZN2at6native41tensor_kernel_scan_outer_dim_with_indicesIiSt13greater_equalIiEEEvPKT_PS4_PljjjS4_T0_, .Lfunc_end5-_ZN2at6native41tensor_kernel_scan_outer_dim_with_indicesIiSt13greater_equalIiEEEvPKT_PS4_PljjjS4_T0_
                                        ; -- End function
	.set _ZN2at6native41tensor_kernel_scan_outer_dim_with_indicesIiSt13greater_equalIiEEEvPKT_PS4_PljjjS4_T0_.num_vgpr, 13
	.set _ZN2at6native41tensor_kernel_scan_outer_dim_with_indicesIiSt13greater_equalIiEEEvPKT_PS4_PljjjS4_T0_.num_agpr, 0
	.set _ZN2at6native41tensor_kernel_scan_outer_dim_with_indicesIiSt13greater_equalIiEEEvPKT_PS4_PljjjS4_T0_.numbered_sgpr, 34
	.set _ZN2at6native41tensor_kernel_scan_outer_dim_with_indicesIiSt13greater_equalIiEEEvPKT_PS4_PljjjS4_T0_.num_named_barrier, 0
	.set _ZN2at6native41tensor_kernel_scan_outer_dim_with_indicesIiSt13greater_equalIiEEEvPKT_PS4_PljjjS4_T0_.private_seg_size, 0
	.set _ZN2at6native41tensor_kernel_scan_outer_dim_with_indicesIiSt13greater_equalIiEEEvPKT_PS4_PljjjS4_T0_.uses_vcc, 1
	.set _ZN2at6native41tensor_kernel_scan_outer_dim_with_indicesIiSt13greater_equalIiEEEvPKT_PS4_PljjjS4_T0_.uses_flat_scratch, 0
	.set _ZN2at6native41tensor_kernel_scan_outer_dim_with_indicesIiSt13greater_equalIiEEEvPKT_PS4_PljjjS4_T0_.has_dyn_sized_stack, 0
	.set _ZN2at6native41tensor_kernel_scan_outer_dim_with_indicesIiSt13greater_equalIiEEEvPKT_PS4_PljjjS4_T0_.has_recursion, 0
	.set _ZN2at6native41tensor_kernel_scan_outer_dim_with_indicesIiSt13greater_equalIiEEEvPKT_PS4_PljjjS4_T0_.has_indirect_call, 0
	.section	.AMDGPU.csdata,"",@progbits
; Kernel info:
; codeLenInByte = 452
; TotalNumSgprs: 36
; NumVgprs: 13
; ScratchSize: 0
; MemoryBound: 0
; FloatMode: 240
; IeeeMode: 1
; LDSByteSize: 0 bytes/workgroup (compile time only)
; SGPRBlocks: 0
; VGPRBlocks: 1
; NumSGPRsForWavesPerEU: 36
; NumVGPRsForWavesPerEU: 13
; Occupancy: 16
; WaveLimiterHint : 0
; COMPUTE_PGM_RSRC2:SCRATCH_EN: 0
; COMPUTE_PGM_RSRC2:USER_SGPR: 6
; COMPUTE_PGM_RSRC2:TRAP_HANDLER: 0
; COMPUTE_PGM_RSRC2:TGID_X_EN: 1
; COMPUTE_PGM_RSRC2:TGID_Y_EN: 1
; COMPUTE_PGM_RSRC2:TGID_Z_EN: 0
; COMPUTE_PGM_RSRC2:TIDIG_COMP_CNT: 0
	.section	.text._ZN2at6native45tensor_kernel_scan_innermost_dim_with_indicesIlSt13greater_equalIlEEEvPKT_PS4_PliijjS4_T0_,"axG",@progbits,_ZN2at6native45tensor_kernel_scan_innermost_dim_with_indicesIlSt13greater_equalIlEEEvPKT_PS4_PliijjS4_T0_,comdat
	.protected	_ZN2at6native45tensor_kernel_scan_innermost_dim_with_indicesIlSt13greater_equalIlEEEvPKT_PS4_PliijjS4_T0_ ; -- Begin function _ZN2at6native45tensor_kernel_scan_innermost_dim_with_indicesIlSt13greater_equalIlEEEvPKT_PS4_PliijjS4_T0_
	.globl	_ZN2at6native45tensor_kernel_scan_innermost_dim_with_indicesIlSt13greater_equalIlEEEvPKT_PS4_PliijjS4_T0_
	.p2align	8
	.type	_ZN2at6native45tensor_kernel_scan_innermost_dim_with_indicesIlSt13greater_equalIlEEEvPKT_PS4_PliijjS4_T0_,@function
_ZN2at6native45tensor_kernel_scan_innermost_dim_with_indicesIlSt13greater_equalIlEEEvPKT_PS4_PliijjS4_T0_: ; @_ZN2at6native45tensor_kernel_scan_innermost_dim_with_indicesIlSt13greater_equalIlEEEvPKT_PS4_PliijjS4_T0_
; %bb.0:
	s_clause 0x1
	s_load_dword s2, s[4:5], 0x44
	s_load_dwordx4 s[8:11], s[4:5], 0x18
	s_add_u32 s0, s4, 56
	s_addc_u32 s1, s5, 0
	s_waitcnt lgkmcnt(0)
	s_lshr_b32 s2, s2, 16
	s_mul_i32 s3, s6, s2
	s_cmp_ge_i32 s3, s8
	s_cbranch_scc1 .LBB6_31
; %bb.1:
	s_lshl_b32 s16, 2, s11
	s_clause 0x2
	s_load_dwordx4 s[12:15], s[4:5], 0x0
	s_load_dwordx2 s[6:7], s[4:5], 0x10
	s_load_dwordx2 s[4:5], s[4:5], 0x28
	v_mul_lo_u32 v2, s16, v1
	s_load_dword s1, s[0:1], 0x0
	s_lshl_b32 s17, s10, 4
	v_lshlrev_b32_e32 v3, 3, v0
	s_lshl_b32 s10, 1, s11
	s_cmp_gt_i32 s9, 0
	v_cmp_eq_u32_e64 s0, 0, v0
	s_cselect_b32 s11, -1, 0
	v_lshlrev_b32_e32 v2, 3, v2
	s_lshl_b32 s18, s10, 3
	v_add_nc_u32_e32 v10, 0, v2
	v_add3_u32 v11, 0, s17, v2
	s_lshl_b32 s17, s16, 3
	s_add_i32 s17, s17, -8
	v_add_nc_u32_e32 v12, v10, v3
	v_add_nc_u32_e32 v13, v11, v3
	;; [unrolled: 1-line block ×4, first 2 shown]
	s_waitcnt lgkmcnt(0)
	s_mul_i32 s17, s1, s2
	v_add_nc_u32_e32 v16, s18, v12
	v_add_nc_u32_e32 v17, s18, v13
	s_branch .LBB6_3
.LBB6_2:                                ;   in Loop: Header=BB6_3 Depth=1
	s_add_i32 s3, s17, s3
	s_cmp_ge_i32 s3, s8
	s_cbranch_scc1 .LBB6_31
.LBB6_3:                                ; =>This Loop Header: Depth=1
                                        ;     Child Loop BB6_6 Depth 2
                                        ;       Child Loop BB6_21 Depth 3
	s_andn2_b32 vcc_lo, exec_lo, s11
	s_cbranch_vccnz .LBB6_2
; %bb.4:                                ;   in Loop: Header=BB6_3 Depth=1
	v_add_nc_u32_e32 v4, s3, v1
	v_mov_b32_e32 v6, 0
	v_mov_b32_e32 v9, s5
	;; [unrolled: 1-line block ×4, first 2 shown]
	v_mul_lo_u32 v2, v4, s9
	v_cmp_le_i32_e64 s1, s8, v4
	s_mov_b32 s18, 0
	v_cmp_gt_i32_e32 vcc_lo, s8, v4
	v_ashrrev_i32_e32 v3, 31, v2
	v_lshlrev_b64 v[2:3], 3, v[2:3]
	v_add_co_u32 v18, s2, s12, v2
	v_add_co_ci_u32_e64 v19, null, s13, v3, s2
	v_add_co_u32 v20, s2, s14, v2
	v_add_co_ci_u32_e64 v21, null, s15, v3, s2
	;; [unrolled: 2-line block ×3, first 2 shown]
	s_branch .LBB6_6
.LBB6_5:                                ;   in Loop: Header=BB6_6 Depth=2
	s_or_b32 exec_lo, exec_lo, s19
	ds_read_b64 v[8:9], v14
	ds_read_b64 v[6:7], v15
	s_add_i32 s18, s18, s16
	s_waitcnt lgkmcnt(0)
	s_waitcnt_vscnt null, 0x0
	s_cmp_ge_i32 s18, s9
	s_barrier
	buffer_gl0_inv
	s_cbranch_scc1 .LBB6_2
.LBB6_6:                                ;   Parent Loop BB6_3 Depth=1
                                        ; =>  This Loop Header: Depth=2
                                        ;       Child Loop BB6_21 Depth 3
	v_add_nc_u32_e32 v4, s18, v0
	v_add_nc_u32_e32 v2, s10, v4
	s_and_saveexec_b32 s19, vcc_lo
	s_cbranch_execz .LBB6_18
; %bb.7:                                ;   in Loop: Header=BB6_6 Depth=2
	v_cmp_le_i32_e64 s2, s9, v4
	s_and_saveexec_b32 s20, s2
	s_xor_b32 s2, exec_lo, s20
; %bb.8:                                ;   in Loop: Header=BB6_6 Depth=2
	v_mov_b32_e32 v25, s5
	v_mov_b32_e32 v24, s4
	ds_write_b64 v12, v[24:25]
; %bb.9:                                ;   in Loop: Header=BB6_6 Depth=2
	s_andn2_saveexec_b32 s20, s2
	s_cbranch_execz .LBB6_11
; %bb.10:                               ;   in Loop: Header=BB6_6 Depth=2
	v_ashrrev_i32_e32 v5, 31, v4
	v_lshlrev_b64 v[24:25], 3, v[4:5]
	v_add_co_u32 v24, s2, v18, v24
	v_add_co_ci_u32_e64 v25, null, v19, v25, s2
	global_load_dwordx2 v[24:25], v[24:25], off
	s_waitcnt vmcnt(0)
	ds_write_b64 v12, v[24:25]
	ds_write_b64 v13, v[4:5]
.LBB6_11:                               ;   in Loop: Header=BB6_6 Depth=2
	s_or_b32 exec_lo, exec_lo, s20
	v_cmp_le_i32_e64 s2, s9, v2
	s_and_saveexec_b32 s20, s2
	s_xor_b32 s2, exec_lo, s20
	s_cbranch_execnz .LBB6_14
; %bb.12:                               ;   in Loop: Header=BB6_6 Depth=2
	s_andn2_saveexec_b32 s20, s2
	s_cbranch_execnz .LBB6_15
.LBB6_13:                               ;   in Loop: Header=BB6_6 Depth=2
	s_or_b32 exec_lo, exec_lo, s20
	s_and_b32 exec_lo, exec_lo, s0
	s_cbranch_execnz .LBB6_16
	s_branch .LBB6_18
.LBB6_14:                               ;   in Loop: Header=BB6_6 Depth=2
	v_mov_b32_e32 v25, s5
	v_mov_b32_e32 v24, s4
	ds_write_b64 v16, v[24:25]
	s_andn2_saveexec_b32 s20, s2
	s_cbranch_execz .LBB6_13
.LBB6_15:                               ;   in Loop: Header=BB6_6 Depth=2
	v_ashrrev_i32_e32 v3, 31, v2
	v_lshlrev_b64 v[24:25], 3, v[2:3]
	v_add_co_u32 v24, s2, v18, v24
	v_add_co_ci_u32_e64 v25, null, v19, v25, s2
	global_load_dwordx2 v[24:25], v[24:25], off
	s_waitcnt vmcnt(0)
	ds_write_b64 v16, v[24:25]
	ds_write_b64 v17, v[2:3]
	s_or_b32 exec_lo, exec_lo, s20
	s_and_b32 exec_lo, exec_lo, s0
	s_cbranch_execz .LBB6_18
.LBB6_16:                               ;   in Loop: Header=BB6_6 Depth=2
	ds_read_b64 v[24:25], v10
	s_waitcnt lgkmcnt(0)
	v_cmp_lt_i64_e64 s2, v[24:25], v[8:9]
	s_and_b32 exec_lo, exec_lo, s2
	s_cbranch_execz .LBB6_18
; %bb.17:                               ;   in Loop: Header=BB6_6 Depth=2
	ds_write_b64 v10, v[8:9]
	ds_write_b64 v11, v[6:7]
.LBB6_18:                               ;   in Loop: Header=BB6_6 Depth=2
	s_or_b32 exec_lo, exec_lo, s19
	v_mov_b32_e32 v3, 1
	s_mov_b32 s19, 0
	s_waitcnt lgkmcnt(0)
	s_barrier
	buffer_gl0_inv
	s_inst_prefetch 0x1
	s_branch .LBB6_21
	.p2align	6
.LBB6_19:                               ;   in Loop: Header=BB6_21 Depth=3
	s_or_b32 exec_lo, exec_lo, s21
	v_mov_b32_e32 v3, v7
.LBB6_20:                               ;   in Loop: Header=BB6_21 Depth=3
	s_or_b32 exec_lo, exec_lo, s20
	v_cmp_lt_u32_e64 s2, s10, v3
	s_waitcnt lgkmcnt(0)
	s_barrier
	buffer_gl0_inv
	s_or_b32 s19, s2, s19
	s_andn2_b32 exec_lo, exec_lo, s19
	s_cbranch_execz .LBB6_26
.LBB6_21:                               ;   Parent Loop BB6_3 Depth=1
                                        ;     Parent Loop BB6_6 Depth=2
                                        ; =>    This Inner Loop Header: Depth=3
	v_lshlrev_b32_e32 v7, 1, v3
	s_and_saveexec_b32 s2, s1
	s_xor_b32 s2, exec_lo, s2
; %bb.22:                               ;   in Loop: Header=BB6_21 Depth=3
	v_lshlrev_b32_e32 v3, 1, v3
                                        ; implicit-def: $vgpr7
; %bb.23:                               ;   in Loop: Header=BB6_21 Depth=3
	s_andn2_saveexec_b32 s20, s2
	s_cbranch_execz .LBB6_20
; %bb.24:                               ;   in Loop: Header=BB6_21 Depth=3
	v_ffbl_b32_e32 v5, v3
	v_add_nc_u32_e32 v8, -1, v3
	s_mov_b32 s21, exec_lo
	v_lshrrev_b32_e32 v5, v5, v0
	v_mad_u64_u32 v[5:6], null, v7, v5, v[3:4]
	v_and_b32_e32 v3, v8, v0
	v_add_nc_u32_e32 v8, -1, v5
	v_add_nc_u32_e32 v3, v5, v3
	v_lshl_add_u32 v5, v8, 3, v10
	v_lshl_add_u32 v9, v3, 3, v10
	ds_read_b64 v[5:6], v5
	ds_read_b64 v[24:25], v9
	s_waitcnt lgkmcnt(0)
	v_cmpx_lt_i64_e64 v[24:25], v[5:6]
	s_cbranch_execz .LBB6_19
; %bb.25:                               ;   in Loop: Header=BB6_21 Depth=3
	v_lshl_add_u32 v8, v8, 3, v11
	v_lshl_add_u32 v3, v3, 3, v11
	ds_read_b64 v[24:25], v8
	ds_write_b64 v9, v[5:6]
	s_waitcnt lgkmcnt(1)
	ds_write_b64 v3, v[24:25]
	s_branch .LBB6_19
.LBB6_26:                               ;   in Loop: Header=BB6_6 Depth=2
	s_inst_prefetch 0x2
	s_or_b32 exec_lo, exec_lo, s19
	s_and_saveexec_b32 s19, vcc_lo
	s_cbranch_execz .LBB6_5
; %bb.27:                               ;   in Loop: Header=BB6_6 Depth=2
	s_mov_b32 s20, exec_lo
	v_cmpx_gt_i32_e64 s9, v4
	s_cbranch_execz .LBB6_29
; %bb.28:                               ;   in Loop: Header=BB6_6 Depth=2
	ds_read_b64 v[6:7], v12
	ds_read_b64 v[8:9], v13
	v_ashrrev_i32_e32 v5, 31, v4
	v_lshlrev_b64 v[3:4], 3, v[4:5]
	v_add_co_u32 v24, s2, v20, v3
	v_add_co_ci_u32_e64 v25, null, v21, v4, s2
	v_add_co_u32 v3, s2, v22, v3
	v_add_co_ci_u32_e64 v4, null, v23, v4, s2
	s_waitcnt lgkmcnt(1)
	global_store_dwordx2 v[24:25], v[6:7], off
	s_waitcnt lgkmcnt(0)
	global_store_dwordx2 v[3:4], v[8:9], off
.LBB6_29:                               ;   in Loop: Header=BB6_6 Depth=2
	s_or_b32 exec_lo, exec_lo, s20
	v_cmp_gt_i32_e64 s2, s9, v2
	s_and_b32 exec_lo, exec_lo, s2
	s_cbranch_execz .LBB6_5
; %bb.30:                               ;   in Loop: Header=BB6_6 Depth=2
	ds_read_b64 v[4:5], v16
	ds_read_b64 v[6:7], v17
	v_ashrrev_i32_e32 v3, 31, v2
	v_lshlrev_b64 v[2:3], 3, v[2:3]
	v_add_co_u32 v8, s2, v20, v2
	v_add_co_ci_u32_e64 v9, null, v21, v3, s2
	v_add_co_u32 v2, s2, v22, v2
	v_add_co_ci_u32_e64 v3, null, v23, v3, s2
	s_waitcnt lgkmcnt(1)
	global_store_dwordx2 v[8:9], v[4:5], off
	s_waitcnt lgkmcnt(0)
	global_store_dwordx2 v[2:3], v[6:7], off
	s_branch .LBB6_5
.LBB6_31:
	s_endpgm
	.section	.rodata,"a",@progbits
	.p2align	6, 0x0
	.amdhsa_kernel _ZN2at6native45tensor_kernel_scan_innermost_dim_with_indicesIlSt13greater_equalIlEEEvPKT_PS4_PliijjS4_T0_
		.amdhsa_group_segment_fixed_size 0
		.amdhsa_private_segment_fixed_size 0
		.amdhsa_kernarg_size 312
		.amdhsa_user_sgpr_count 6
		.amdhsa_user_sgpr_private_segment_buffer 1
		.amdhsa_user_sgpr_dispatch_ptr 0
		.amdhsa_user_sgpr_queue_ptr 0
		.amdhsa_user_sgpr_kernarg_segment_ptr 1
		.amdhsa_user_sgpr_dispatch_id 0
		.amdhsa_user_sgpr_flat_scratch_init 0
		.amdhsa_user_sgpr_private_segment_size 0
		.amdhsa_wavefront_size32 1
		.amdhsa_uses_dynamic_stack 0
		.amdhsa_system_sgpr_private_segment_wavefront_offset 0
		.amdhsa_system_sgpr_workgroup_id_x 1
		.amdhsa_system_sgpr_workgroup_id_y 0
		.amdhsa_system_sgpr_workgroup_id_z 0
		.amdhsa_system_sgpr_workgroup_info 0
		.amdhsa_system_vgpr_workitem_id 1
		.amdhsa_next_free_vgpr 26
		.amdhsa_next_free_sgpr 22
		.amdhsa_reserve_vcc 1
		.amdhsa_reserve_flat_scratch 0
		.amdhsa_float_round_mode_32 0
		.amdhsa_float_round_mode_16_64 0
		.amdhsa_float_denorm_mode_32 3
		.amdhsa_float_denorm_mode_16_64 3
		.amdhsa_dx10_clamp 1
		.amdhsa_ieee_mode 1
		.amdhsa_fp16_overflow 0
		.amdhsa_workgroup_processor_mode 1
		.amdhsa_memory_ordered 1
		.amdhsa_forward_progress 1
		.amdhsa_shared_vgpr_count 0
		.amdhsa_exception_fp_ieee_invalid_op 0
		.amdhsa_exception_fp_denorm_src 0
		.amdhsa_exception_fp_ieee_div_zero 0
		.amdhsa_exception_fp_ieee_overflow 0
		.amdhsa_exception_fp_ieee_underflow 0
		.amdhsa_exception_fp_ieee_inexact 0
		.amdhsa_exception_int_div_zero 0
	.end_amdhsa_kernel
	.section	.text._ZN2at6native45tensor_kernel_scan_innermost_dim_with_indicesIlSt13greater_equalIlEEEvPKT_PS4_PliijjS4_T0_,"axG",@progbits,_ZN2at6native45tensor_kernel_scan_innermost_dim_with_indicesIlSt13greater_equalIlEEEvPKT_PS4_PliijjS4_T0_,comdat
.Lfunc_end6:
	.size	_ZN2at6native45tensor_kernel_scan_innermost_dim_with_indicesIlSt13greater_equalIlEEEvPKT_PS4_PliijjS4_T0_, .Lfunc_end6-_ZN2at6native45tensor_kernel_scan_innermost_dim_with_indicesIlSt13greater_equalIlEEEvPKT_PS4_PliijjS4_T0_
                                        ; -- End function
	.set _ZN2at6native45tensor_kernel_scan_innermost_dim_with_indicesIlSt13greater_equalIlEEEvPKT_PS4_PliijjS4_T0_.num_vgpr, 26
	.set _ZN2at6native45tensor_kernel_scan_innermost_dim_with_indicesIlSt13greater_equalIlEEEvPKT_PS4_PliijjS4_T0_.num_agpr, 0
	.set _ZN2at6native45tensor_kernel_scan_innermost_dim_with_indicesIlSt13greater_equalIlEEEvPKT_PS4_PliijjS4_T0_.numbered_sgpr, 22
	.set _ZN2at6native45tensor_kernel_scan_innermost_dim_with_indicesIlSt13greater_equalIlEEEvPKT_PS4_PliijjS4_T0_.num_named_barrier, 0
	.set _ZN2at6native45tensor_kernel_scan_innermost_dim_with_indicesIlSt13greater_equalIlEEEvPKT_PS4_PliijjS4_T0_.private_seg_size, 0
	.set _ZN2at6native45tensor_kernel_scan_innermost_dim_with_indicesIlSt13greater_equalIlEEEvPKT_PS4_PliijjS4_T0_.uses_vcc, 1
	.set _ZN2at6native45tensor_kernel_scan_innermost_dim_with_indicesIlSt13greater_equalIlEEEvPKT_PS4_PliijjS4_T0_.uses_flat_scratch, 0
	.set _ZN2at6native45tensor_kernel_scan_innermost_dim_with_indicesIlSt13greater_equalIlEEEvPKT_PS4_PliijjS4_T0_.has_dyn_sized_stack, 0
	.set _ZN2at6native45tensor_kernel_scan_innermost_dim_with_indicesIlSt13greater_equalIlEEEvPKT_PS4_PliijjS4_T0_.has_recursion, 0
	.set _ZN2at6native45tensor_kernel_scan_innermost_dim_with_indicesIlSt13greater_equalIlEEEvPKT_PS4_PliijjS4_T0_.has_indirect_call, 0
	.section	.AMDGPU.csdata,"",@progbits
; Kernel info:
; codeLenInByte = 1136
; TotalNumSgprs: 24
; NumVgprs: 26
; ScratchSize: 0
; MemoryBound: 0
; FloatMode: 240
; IeeeMode: 1
; LDSByteSize: 0 bytes/workgroup (compile time only)
; SGPRBlocks: 0
; VGPRBlocks: 3
; NumSGPRsForWavesPerEU: 24
; NumVGPRsForWavesPerEU: 26
; Occupancy: 16
; WaveLimiterHint : 0
; COMPUTE_PGM_RSRC2:SCRATCH_EN: 0
; COMPUTE_PGM_RSRC2:USER_SGPR: 6
; COMPUTE_PGM_RSRC2:TRAP_HANDLER: 0
; COMPUTE_PGM_RSRC2:TGID_X_EN: 1
; COMPUTE_PGM_RSRC2:TGID_Y_EN: 0
; COMPUTE_PGM_RSRC2:TGID_Z_EN: 0
; COMPUTE_PGM_RSRC2:TIDIG_COMP_CNT: 1
	.section	.text._ZN2at6native41tensor_kernel_scan_outer_dim_with_indicesIlSt13greater_equalIlEEEvPKT_PS4_PljjjS4_T0_,"axG",@progbits,_ZN2at6native41tensor_kernel_scan_outer_dim_with_indicesIlSt13greater_equalIlEEEvPKT_PS4_PljjjS4_T0_,comdat
	.protected	_ZN2at6native41tensor_kernel_scan_outer_dim_with_indicesIlSt13greater_equalIlEEEvPKT_PS4_PljjjS4_T0_ ; -- Begin function _ZN2at6native41tensor_kernel_scan_outer_dim_with_indicesIlSt13greater_equalIlEEEvPKT_PS4_PljjjS4_T0_
	.globl	_ZN2at6native41tensor_kernel_scan_outer_dim_with_indicesIlSt13greater_equalIlEEEvPKT_PS4_PljjjS4_T0_
	.p2align	8
	.type	_ZN2at6native41tensor_kernel_scan_outer_dim_with_indicesIlSt13greater_equalIlEEEvPKT_PS4_PljjjS4_T0_,@function
_ZN2at6native41tensor_kernel_scan_outer_dim_with_indicesIlSt13greater_equalIlEEEvPKT_PS4_PljjjS4_T0_: ; @_ZN2at6native41tensor_kernel_scan_outer_dim_with_indicesIlSt13greater_equalIlEEEvPKT_PS4_PljjjS4_T0_
; %bb.0:
	s_load_dwordx4 s[8:11], s[4:5], 0x18
	s_waitcnt lgkmcnt(0)
	s_cmp_ge_u32 s6, s8
	s_cbranch_scc1 .LBB7_9
; %bb.1:
	s_clause 0x4
	s_load_dword s0, s[4:5], 0x44
	s_load_dword s3, s[4:5], 0x38
	s_load_dwordx2 s[16:17], s[4:5], 0x28
	s_load_dwordx4 s[12:15], s[4:5], 0x0
	s_load_dwordx2 s[18:19], s[4:5], 0x10
	s_add_u32 s4, s4, 56
	s_addc_u32 s5, s5, 0
	v_mov_b32_e32 v2, 0
	s_mov_b32 s21, 0
	s_mov_b32 s20, s9
	s_waitcnt lgkmcnt(0)
	s_and_b32 s11, s0, 0xffff
	s_mul_i32 s0, s6, s10
	v_mad_u64_u32 v[0:1], null, s7, s11, v[0:1]
	s_mul_i32 s1, s0, s9
	s_cmp_lg_u32 s10, 0
	s_mul_i32 s28, s3, s10
	s_cselect_b32 s7, -1, 0
	s_mul_i32 s28, s28, s9
	s_lshl_b64 s[22:23], s[20:21], 3
	v_cmp_gt_u32_e64 s0, s9, v0
	s_mov_b32 s20, s1
	s_branch .LBB7_3
.LBB7_2:                                ;   in Loop: Header=BB7_3 Depth=1
	s_or_b32 exec_lo, exec_lo, s29
	s_add_i32 s6, s3, s6
	s_add_i32 s20, s20, s28
	s_cmp_ge_u32 s6, s8
	s_cbranch_scc1 .LBB7_9
.LBB7_3:                                ; =>This Loop Header: Depth=1
                                        ;     Child Loop BB7_6 Depth 2
                                        ;       Child Loop BB7_8 Depth 3
	s_and_saveexec_b32 s29, s0
	s_cbranch_execz .LBB7_2
; %bb.4:                                ;   in Loop: Header=BB7_3 Depth=1
	s_load_dword s30, s[4:5], 0x4
	v_mov_b32_e32 v1, v0
	s_lshl_b64 s[24:25], s[20:21], 3
	s_mov_b32 s31, 0
	s_waitcnt lgkmcnt(0)
	s_mul_i32 s30, s30, s11
	s_branch .LBB7_6
.LBB7_5:                                ;   in Loop: Header=BB7_6 Depth=2
	s_inst_prefetch 0x2
	v_add_nc_u32_e32 v1, s30, v1
	v_cmp_le_u32_e32 vcc_lo, s9, v1
	s_or_b32 s31, vcc_lo, s31
	s_andn2_b32 exec_lo, exec_lo, s31
	s_cbranch_execz .LBB7_2
.LBB7_6:                                ;   Parent Loop BB7_3 Depth=1
                                        ; =>  This Loop Header: Depth=2
                                        ;       Child Loop BB7_8 Depth 3
	s_andn2_b32 vcc_lo, exec_lo, s7
	s_cbranch_vccnz .LBB7_5
; %bb.7:                                ;   in Loop: Header=BB7_6 Depth=2
	v_lshlrev_b64 v[5:6], 3, v[1:2]
	v_mov_b32_e32 v3, 0
	v_mov_b32_e32 v4, 0
	s_mov_b64 s[26:27], 0
	v_add_co_u32 v7, vcc_lo, s24, v5
	v_add_co_ci_u32_e64 v8, null, s25, v6, vcc_lo
	v_mov_b32_e32 v5, s16
	v_mov_b32_e32 v6, s17
	s_inst_prefetch 0x1
	.p2align	6
.LBB7_8:                                ;   Parent Loop BB7_3 Depth=1
                                        ;     Parent Loop BB7_6 Depth=2
                                        ; =>    This Inner Loop Header: Depth=3
	v_add_co_u32 v9, vcc_lo, s12, v7
	v_add_co_ci_u32_e64 v10, null, s13, v8, vcc_lo
	v_add_co_u32 v11, vcc_lo, s18, v7
	v_add_co_ci_u32_e64 v12, null, s19, v8, vcc_lo
	global_load_dwordx2 v[9:10], v[9:10], off
	v_add_co_u32 v13, vcc_lo, s14, v7
	v_add_co_ci_u32_e64 v14, null, s15, v8, vcc_lo
	v_add_co_u32 v7, vcc_lo, v7, s22
	v_add_co_ci_u32_e64 v8, null, s23, v8, vcc_lo
	s_waitcnt vmcnt(0)
	v_cmp_gt_i64_e64 s1, v[9:10], v[5:6]
	v_cmp_lt_i64_e64 s2, v[9:10], v[5:6]
	v_cndmask_b32_e64 v6, v6, v10, s1
	v_cndmask_b32_e64 v4, s27, v4, s2
	;; [unrolled: 1-line block ×4, first 2 shown]
	s_add_u32 s26, s26, 1
	s_addc_u32 s27, s27, 0
	s_cmp_eq_u32 s10, s26
	global_store_dwordx2 v[13:14], v[5:6], off
	global_store_dwordx2 v[11:12], v[3:4], off
	s_cbranch_scc0 .LBB7_8
	s_branch .LBB7_5
.LBB7_9:
	s_endpgm
	.section	.rodata,"a",@progbits
	.p2align	6, 0x0
	.amdhsa_kernel _ZN2at6native41tensor_kernel_scan_outer_dim_with_indicesIlSt13greater_equalIlEEEvPKT_PS4_PljjjS4_T0_
		.amdhsa_group_segment_fixed_size 0
		.amdhsa_private_segment_fixed_size 0
		.amdhsa_kernarg_size 312
		.amdhsa_user_sgpr_count 6
		.amdhsa_user_sgpr_private_segment_buffer 1
		.amdhsa_user_sgpr_dispatch_ptr 0
		.amdhsa_user_sgpr_queue_ptr 0
		.amdhsa_user_sgpr_kernarg_segment_ptr 1
		.amdhsa_user_sgpr_dispatch_id 0
		.amdhsa_user_sgpr_flat_scratch_init 0
		.amdhsa_user_sgpr_private_segment_size 0
		.amdhsa_wavefront_size32 1
		.amdhsa_uses_dynamic_stack 0
		.amdhsa_system_sgpr_private_segment_wavefront_offset 0
		.amdhsa_system_sgpr_workgroup_id_x 1
		.amdhsa_system_sgpr_workgroup_id_y 1
		.amdhsa_system_sgpr_workgroup_id_z 0
		.amdhsa_system_sgpr_workgroup_info 0
		.amdhsa_system_vgpr_workitem_id 0
		.amdhsa_next_free_vgpr 15
		.amdhsa_next_free_sgpr 32
		.amdhsa_reserve_vcc 1
		.amdhsa_reserve_flat_scratch 0
		.amdhsa_float_round_mode_32 0
		.amdhsa_float_round_mode_16_64 0
		.amdhsa_float_denorm_mode_32 3
		.amdhsa_float_denorm_mode_16_64 3
		.amdhsa_dx10_clamp 1
		.amdhsa_ieee_mode 1
		.amdhsa_fp16_overflow 0
		.amdhsa_workgroup_processor_mode 1
		.amdhsa_memory_ordered 1
		.amdhsa_forward_progress 1
		.amdhsa_shared_vgpr_count 0
		.amdhsa_exception_fp_ieee_invalid_op 0
		.amdhsa_exception_fp_denorm_src 0
		.amdhsa_exception_fp_ieee_div_zero 0
		.amdhsa_exception_fp_ieee_overflow 0
		.amdhsa_exception_fp_ieee_underflow 0
		.amdhsa_exception_fp_ieee_inexact 0
		.amdhsa_exception_int_div_zero 0
	.end_amdhsa_kernel
	.section	.text._ZN2at6native41tensor_kernel_scan_outer_dim_with_indicesIlSt13greater_equalIlEEEvPKT_PS4_PljjjS4_T0_,"axG",@progbits,_ZN2at6native41tensor_kernel_scan_outer_dim_with_indicesIlSt13greater_equalIlEEEvPKT_PS4_PljjjS4_T0_,comdat
.Lfunc_end7:
	.size	_ZN2at6native41tensor_kernel_scan_outer_dim_with_indicesIlSt13greater_equalIlEEEvPKT_PS4_PljjjS4_T0_, .Lfunc_end7-_ZN2at6native41tensor_kernel_scan_outer_dim_with_indicesIlSt13greater_equalIlEEEvPKT_PS4_PljjjS4_T0_
                                        ; -- End function
	.set _ZN2at6native41tensor_kernel_scan_outer_dim_with_indicesIlSt13greater_equalIlEEEvPKT_PS4_PljjjS4_T0_.num_vgpr, 15
	.set _ZN2at6native41tensor_kernel_scan_outer_dim_with_indicesIlSt13greater_equalIlEEEvPKT_PS4_PljjjS4_T0_.num_agpr, 0
	.set _ZN2at6native41tensor_kernel_scan_outer_dim_with_indicesIlSt13greater_equalIlEEEvPKT_PS4_PljjjS4_T0_.numbered_sgpr, 32
	.set _ZN2at6native41tensor_kernel_scan_outer_dim_with_indicesIlSt13greater_equalIlEEEvPKT_PS4_PljjjS4_T0_.num_named_barrier, 0
	.set _ZN2at6native41tensor_kernel_scan_outer_dim_with_indicesIlSt13greater_equalIlEEEvPKT_PS4_PljjjS4_T0_.private_seg_size, 0
	.set _ZN2at6native41tensor_kernel_scan_outer_dim_with_indicesIlSt13greater_equalIlEEEvPKT_PS4_PljjjS4_T0_.uses_vcc, 1
	.set _ZN2at6native41tensor_kernel_scan_outer_dim_with_indicesIlSt13greater_equalIlEEEvPKT_PS4_PljjjS4_T0_.uses_flat_scratch, 0
	.set _ZN2at6native41tensor_kernel_scan_outer_dim_with_indicesIlSt13greater_equalIlEEEvPKT_PS4_PljjjS4_T0_.has_dyn_sized_stack, 0
	.set _ZN2at6native41tensor_kernel_scan_outer_dim_with_indicesIlSt13greater_equalIlEEEvPKT_PS4_PljjjS4_T0_.has_recursion, 0
	.set _ZN2at6native41tensor_kernel_scan_outer_dim_with_indicesIlSt13greater_equalIlEEEvPKT_PS4_PljjjS4_T0_.has_indirect_call, 0
	.section	.AMDGPU.csdata,"",@progbits
; Kernel info:
; codeLenInByte = 484
; TotalNumSgprs: 34
; NumVgprs: 15
; ScratchSize: 0
; MemoryBound: 0
; FloatMode: 240
; IeeeMode: 1
; LDSByteSize: 0 bytes/workgroup (compile time only)
; SGPRBlocks: 0
; VGPRBlocks: 1
; NumSGPRsForWavesPerEU: 34
; NumVGPRsForWavesPerEU: 15
; Occupancy: 16
; WaveLimiterHint : 0
; COMPUTE_PGM_RSRC2:SCRATCH_EN: 0
; COMPUTE_PGM_RSRC2:USER_SGPR: 6
; COMPUTE_PGM_RSRC2:TRAP_HANDLER: 0
; COMPUTE_PGM_RSRC2:TGID_X_EN: 1
; COMPUTE_PGM_RSRC2:TGID_Y_EN: 1
; COMPUTE_PGM_RSRC2:TGID_Z_EN: 0
; COMPUTE_PGM_RSRC2:TIDIG_COMP_CNT: 0
	.section	.text._ZN2at6native45tensor_kernel_scan_innermost_dim_with_indicesIsSt13greater_equalIsEEEvPKT_PS4_PliijjS4_T0_,"axG",@progbits,_ZN2at6native45tensor_kernel_scan_innermost_dim_with_indicesIsSt13greater_equalIsEEEvPKT_PS4_PliijjS4_T0_,comdat
	.protected	_ZN2at6native45tensor_kernel_scan_innermost_dim_with_indicesIsSt13greater_equalIsEEEvPKT_PS4_PliijjS4_T0_ ; -- Begin function _ZN2at6native45tensor_kernel_scan_innermost_dim_with_indicesIsSt13greater_equalIsEEEvPKT_PS4_PliijjS4_T0_
	.globl	_ZN2at6native45tensor_kernel_scan_innermost_dim_with_indicesIsSt13greater_equalIsEEEvPKT_PS4_PliijjS4_T0_
	.p2align	8
	.type	_ZN2at6native45tensor_kernel_scan_innermost_dim_with_indicesIsSt13greater_equalIsEEEvPKT_PS4_PliijjS4_T0_,@function
_ZN2at6native45tensor_kernel_scan_innermost_dim_with_indicesIsSt13greater_equalIsEEEvPKT_PS4_PliijjS4_T0_: ; @_ZN2at6native45tensor_kernel_scan_innermost_dim_with_indicesIsSt13greater_equalIsEEEvPKT_PS4_PliijjS4_T0_
; %bb.0:
	s_clause 0x1
	s_load_dword s2, s[4:5], 0x3c
	s_load_dwordx4 s[8:11], s[4:5], 0x18
	s_add_u32 s0, s4, 48
	s_addc_u32 s1, s5, 0
	s_waitcnt lgkmcnt(0)
	s_lshr_b32 s2, s2, 16
	s_mul_i32 s3, s6, s2
	s_cmp_ge_i32 s3, s8
	s_cbranch_scc1 .LBB8_31
; %bb.1:
	s_lshl_b32 s6, 2, s11
	s_clause 0x2
	s_load_dword s7, s[4:5], 0x28
	s_load_dwordx4 s[12:15], s[4:5], 0x0
	s_load_dwordx2 s[4:5], s[4:5], 0x10
	s_load_dword s16, s[0:1], 0x0
	v_mul_lo_u32 v2, s6, v1
	s_lshl_b32 s0, s10, 2
	s_lshl_b32 s10, 1, s11
	s_cmp_gt_i32 s9, 0
	s_cselect_b32 s11, -1, 0
	s_add_i32 s1, s6, -1
	v_lshlrev_b32_e32 v3, 3, v2
	v_lshl_add_u32 v8, v2, 1, 0
	v_add3_u32 v9, 0, s0, v3
	v_lshl_add_u32 v10, v0, 1, v8
	v_cmp_eq_u32_e64 s0, 0, v0
	v_lshl_add_u32 v12, s1, 1, v8
	v_lshl_add_u32 v11, v0, 3, v9
	;; [unrolled: 1-line block ×4, first 2 shown]
	s_waitcnt lgkmcnt(0)
	s_mul_i32 s16, s16, s2
	v_lshl_add_u32 v15, s10, 3, v11
	s_branch .LBB8_3
.LBB8_2:                                ;   in Loop: Header=BB8_3 Depth=1
	s_add_i32 s3, s16, s3
	s_cmp_ge_i32 s3, s8
	s_cbranch_scc1 .LBB8_31
.LBB8_3:                                ; =>This Loop Header: Depth=1
                                        ;     Child Loop BB8_6 Depth 2
                                        ;       Child Loop BB8_21 Depth 3
	s_andn2_b32 vcc_lo, exec_lo, s11
	s_cbranch_vccnz .LBB8_2
; %bb.4:                                ;   in Loop: Header=BB8_3 Depth=1
	v_add_nc_u32_e32 v16, s3, v1
	v_mov_b32_e32 v6, 0
	v_mov_b32_e32 v7, 0
	;; [unrolled: 1-line block ×3, first 2 shown]
	s_mov_b32 s17, 0
	v_mul_lo_u32 v2, v16, s9
	v_cmp_gt_i32_e32 vcc_lo, s8, v16
	v_cmp_le_i32_e64 s1, s8, v16
	v_ashrrev_i32_e32 v3, 31, v2
	v_lshlrev_b64 v[4:5], 1, v[2:3]
	v_lshlrev_b64 v[2:3], 3, v[2:3]
	v_add_co_u32 v16, s2, s12, v4
	v_add_co_ci_u32_e64 v17, null, s13, v5, s2
	v_add_co_u32 v18, s2, s14, v4
	v_add_co_ci_u32_e64 v19, null, s15, v5, s2
	;; [unrolled: 2-line block ×3, first 2 shown]
	s_branch .LBB8_6
.LBB8_5:                                ;   in Loop: Header=BB8_6 Depth=2
	s_or_b32 exec_lo, exec_lo, s18
	ds_read_u16 v22, v12
	ds_read_b64 v[6:7], v14
	s_add_i32 s17, s17, s6
	s_waitcnt lgkmcnt(0)
	s_waitcnt_vscnt null, 0x0
	s_cmp_ge_i32 s17, s9
	s_barrier
	buffer_gl0_inv
	s_cbranch_scc1 .LBB8_2
.LBB8_6:                                ;   Parent Loop BB8_3 Depth=1
                                        ; =>  This Loop Header: Depth=2
                                        ;       Child Loop BB8_21 Depth 3
	v_add_nc_u32_e32 v4, s17, v0
	v_add_nc_u32_e32 v2, s10, v4
	s_and_saveexec_b32 s18, vcc_lo
	s_cbranch_execz .LBB8_18
; %bb.7:                                ;   in Loop: Header=BB8_6 Depth=2
	v_cmp_le_i32_e64 s2, s9, v4
	s_and_saveexec_b32 s19, s2
	s_xor_b32 s2, exec_lo, s19
; %bb.8:                                ;   in Loop: Header=BB8_6 Depth=2
	v_mov_b32_e32 v3, s7
	ds_write_b16 v10, v3
; %bb.9:                                ;   in Loop: Header=BB8_6 Depth=2
	s_andn2_saveexec_b32 s19, s2
	s_cbranch_execz .LBB8_11
; %bb.10:                               ;   in Loop: Header=BB8_6 Depth=2
	v_ashrrev_i32_e32 v5, 31, v4
	v_lshlrev_b64 v[23:24], 1, v[4:5]
	v_add_co_u32 v23, s2, v16, v23
	v_add_co_ci_u32_e64 v24, null, v17, v24, s2
	global_load_ushort v3, v[23:24], off
	s_waitcnt vmcnt(0)
	ds_write_b16 v10, v3
	ds_write_b64 v11, v[4:5]
.LBB8_11:                               ;   in Loop: Header=BB8_6 Depth=2
	s_or_b32 exec_lo, exec_lo, s19
	v_cmp_le_i32_e64 s2, s9, v2
	s_and_saveexec_b32 s19, s2
	s_xor_b32 s2, exec_lo, s19
	s_cbranch_execnz .LBB8_14
; %bb.12:                               ;   in Loop: Header=BB8_6 Depth=2
	s_andn2_saveexec_b32 s19, s2
	s_cbranch_execnz .LBB8_15
.LBB8_13:                               ;   in Loop: Header=BB8_6 Depth=2
	s_or_b32 exec_lo, exec_lo, s19
	s_and_b32 exec_lo, exec_lo, s0
	s_cbranch_execnz .LBB8_16
	s_branch .LBB8_18
.LBB8_14:                               ;   in Loop: Header=BB8_6 Depth=2
	v_mov_b32_e32 v3, s7
	ds_write_b16 v13, v3
	s_andn2_saveexec_b32 s19, s2
	s_cbranch_execz .LBB8_13
.LBB8_15:                               ;   in Loop: Header=BB8_6 Depth=2
	v_ashrrev_i32_e32 v3, 31, v2
	v_lshlrev_b64 v[23:24], 1, v[2:3]
	v_add_co_u32 v23, s2, v16, v23
	v_add_co_ci_u32_e64 v24, null, v17, v24, s2
	global_load_ushort v5, v[23:24], off
	s_waitcnt vmcnt(0)
	ds_write_b16 v13, v5
	ds_write_b64 v15, v[2:3]
	s_or_b32 exec_lo, exec_lo, s19
	s_and_b32 exec_lo, exec_lo, s0
	s_cbranch_execz .LBB8_18
.LBB8_16:                               ;   in Loop: Header=BB8_6 Depth=2
	ds_read_u16 v3, v8
	s_waitcnt lgkmcnt(0)
	v_cmp_lt_i16_e64 s2, v3, v22
	s_and_b32 exec_lo, exec_lo, s2
	s_cbranch_execz .LBB8_18
; %bb.17:                               ;   in Loop: Header=BB8_6 Depth=2
	ds_write_b16 v8, v22
	ds_write_b64 v9, v[6:7]
.LBB8_18:                               ;   in Loop: Header=BB8_6 Depth=2
	s_or_b32 exec_lo, exec_lo, s18
	v_mov_b32_e32 v3, 1
	s_mov_b32 s18, 0
	s_waitcnt lgkmcnt(0)
	s_barrier
	buffer_gl0_inv
	s_inst_prefetch 0x1
	s_branch .LBB8_21
	.p2align	6
.LBB8_19:                               ;   in Loop: Header=BB8_21 Depth=3
	s_or_b32 exec_lo, exec_lo, s20
	v_mov_b32_e32 v3, v5
.LBB8_20:                               ;   in Loop: Header=BB8_21 Depth=3
	s_or_b32 exec_lo, exec_lo, s19
	v_cmp_lt_u32_e64 s2, s10, v3
	s_waitcnt lgkmcnt(0)
	s_barrier
	buffer_gl0_inv
	s_or_b32 s18, s2, s18
	s_andn2_b32 exec_lo, exec_lo, s18
	s_cbranch_execz .LBB8_26
.LBB8_21:                               ;   Parent Loop BB8_3 Depth=1
                                        ;     Parent Loop BB8_6 Depth=2
                                        ; =>    This Inner Loop Header: Depth=3
	v_lshlrev_b32_e32 v5, 1, v3
	s_and_saveexec_b32 s2, s1
	s_xor_b32 s2, exec_lo, s2
; %bb.22:                               ;   in Loop: Header=BB8_21 Depth=3
	v_lshlrev_b32_e32 v3, 1, v3
                                        ; implicit-def: $vgpr5
; %bb.23:                               ;   in Loop: Header=BB8_21 Depth=3
	s_andn2_saveexec_b32 s19, s2
	s_cbranch_execz .LBB8_20
; %bb.24:                               ;   in Loop: Header=BB8_21 Depth=3
	v_ffbl_b32_e32 v6, v3
	v_add_nc_u32_e32 v7, -1, v3
	s_mov_b32 s20, exec_lo
	v_lshrrev_b32_e32 v6, v6, v0
	v_mad_u64_u32 v[22:23], null, v5, v6, v[3:4]
	v_and_b32_e32 v3, v7, v0
	v_add_nc_u32_e32 v6, -1, v22
	v_add_nc_u32_e32 v3, v22, v3
	v_lshl_add_u32 v22, v6, 1, v8
	v_lshl_add_u32 v7, v3, 1, v8
	ds_read_u16 v22, v22
	ds_read_u16 v23, v7
	s_waitcnt lgkmcnt(0)
	v_cmpx_lt_i16_e64 v23, v22
	s_cbranch_execz .LBB8_19
; %bb.25:                               ;   in Loop: Header=BB8_21 Depth=3
	v_lshl_add_u32 v6, v6, 3, v9
	v_lshl_add_u32 v3, v3, 3, v9
	ds_read_b64 v[23:24], v6
	ds_write_b16 v7, v22
	s_waitcnt lgkmcnt(1)
	ds_write_b64 v3, v[23:24]
	s_branch .LBB8_19
.LBB8_26:                               ;   in Loop: Header=BB8_6 Depth=2
	s_inst_prefetch 0x2
	s_or_b32 exec_lo, exec_lo, s18
	s_and_saveexec_b32 s18, vcc_lo
	s_cbranch_execz .LBB8_5
; %bb.27:                               ;   in Loop: Header=BB8_6 Depth=2
	s_mov_b32 s19, exec_lo
	v_cmpx_gt_i32_e64 s9, v4
	s_cbranch_execz .LBB8_29
; %bb.28:                               ;   in Loop: Header=BB8_6 Depth=2
	ds_read_u16 v24, v10
	ds_read_b64 v[6:7], v11
	v_ashrrev_i32_e32 v5, 31, v4
	v_lshlrev_b64 v[22:23], 1, v[4:5]
	v_lshlrev_b64 v[3:4], 3, v[4:5]
	v_add_co_u32 v22, s2, v18, v22
	v_add_co_ci_u32_e64 v23, null, v19, v23, s2
	v_add_co_u32 v3, s2, v20, v3
	v_add_co_ci_u32_e64 v4, null, v21, v4, s2
	s_waitcnt lgkmcnt(1)
	global_store_short v[22:23], v24, off
	s_waitcnt lgkmcnt(0)
	global_store_dwordx2 v[3:4], v[6:7], off
.LBB8_29:                               ;   in Loop: Header=BB8_6 Depth=2
	s_or_b32 exec_lo, exec_lo, s19
	v_cmp_gt_i32_e64 s2, s9, v2
	s_and_b32 exec_lo, exec_lo, s2
	s_cbranch_execz .LBB8_5
; %bb.30:                               ;   in Loop: Header=BB8_6 Depth=2
	ds_read_u16 v22, v13
	ds_read_b64 v[4:5], v15
	v_ashrrev_i32_e32 v3, 31, v2
	v_lshlrev_b64 v[6:7], 1, v[2:3]
	v_lshlrev_b64 v[2:3], 3, v[2:3]
	v_add_co_u32 v6, s2, v18, v6
	v_add_co_ci_u32_e64 v7, null, v19, v7, s2
	v_add_co_u32 v2, s2, v20, v2
	v_add_co_ci_u32_e64 v3, null, v21, v3, s2
	s_waitcnt lgkmcnt(1)
	global_store_short v[6:7], v22, off
	s_waitcnt lgkmcnt(0)
	global_store_dwordx2 v[2:3], v[4:5], off
	s_branch .LBB8_5
.LBB8_31:
	s_endpgm
	.section	.rodata,"a",@progbits
	.p2align	6, 0x0
	.amdhsa_kernel _ZN2at6native45tensor_kernel_scan_innermost_dim_with_indicesIsSt13greater_equalIsEEEvPKT_PS4_PliijjS4_T0_
		.amdhsa_group_segment_fixed_size 0
		.amdhsa_private_segment_fixed_size 0
		.amdhsa_kernarg_size 304
		.amdhsa_user_sgpr_count 6
		.amdhsa_user_sgpr_private_segment_buffer 1
		.amdhsa_user_sgpr_dispatch_ptr 0
		.amdhsa_user_sgpr_queue_ptr 0
		.amdhsa_user_sgpr_kernarg_segment_ptr 1
		.amdhsa_user_sgpr_dispatch_id 0
		.amdhsa_user_sgpr_flat_scratch_init 0
		.amdhsa_user_sgpr_private_segment_size 0
		.amdhsa_wavefront_size32 1
		.amdhsa_uses_dynamic_stack 0
		.amdhsa_system_sgpr_private_segment_wavefront_offset 0
		.amdhsa_system_sgpr_workgroup_id_x 1
		.amdhsa_system_sgpr_workgroup_id_y 0
		.amdhsa_system_sgpr_workgroup_id_z 0
		.amdhsa_system_sgpr_workgroup_info 0
		.amdhsa_system_vgpr_workitem_id 1
		.amdhsa_next_free_vgpr 25
		.amdhsa_next_free_sgpr 21
		.amdhsa_reserve_vcc 1
		.amdhsa_reserve_flat_scratch 0
		.amdhsa_float_round_mode_32 0
		.amdhsa_float_round_mode_16_64 0
		.amdhsa_float_denorm_mode_32 3
		.amdhsa_float_denorm_mode_16_64 3
		.amdhsa_dx10_clamp 1
		.amdhsa_ieee_mode 1
		.amdhsa_fp16_overflow 0
		.amdhsa_workgroup_processor_mode 1
		.amdhsa_memory_ordered 1
		.amdhsa_forward_progress 1
		.amdhsa_shared_vgpr_count 0
		.amdhsa_exception_fp_ieee_invalid_op 0
		.amdhsa_exception_fp_denorm_src 0
		.amdhsa_exception_fp_ieee_div_zero 0
		.amdhsa_exception_fp_ieee_overflow 0
		.amdhsa_exception_fp_ieee_underflow 0
		.amdhsa_exception_fp_ieee_inexact 0
		.amdhsa_exception_int_div_zero 0
	.end_amdhsa_kernel
	.section	.text._ZN2at6native45tensor_kernel_scan_innermost_dim_with_indicesIsSt13greater_equalIsEEEvPKT_PS4_PliijjS4_T0_,"axG",@progbits,_ZN2at6native45tensor_kernel_scan_innermost_dim_with_indicesIsSt13greater_equalIsEEEvPKT_PS4_PliijjS4_T0_,comdat
.Lfunc_end8:
	.size	_ZN2at6native45tensor_kernel_scan_innermost_dim_with_indicesIsSt13greater_equalIsEEEvPKT_PS4_PliijjS4_T0_, .Lfunc_end8-_ZN2at6native45tensor_kernel_scan_innermost_dim_with_indicesIsSt13greater_equalIsEEEvPKT_PS4_PliijjS4_T0_
                                        ; -- End function
	.set _ZN2at6native45tensor_kernel_scan_innermost_dim_with_indicesIsSt13greater_equalIsEEEvPKT_PS4_PliijjS4_T0_.num_vgpr, 25
	.set _ZN2at6native45tensor_kernel_scan_innermost_dim_with_indicesIsSt13greater_equalIsEEEvPKT_PS4_PliijjS4_T0_.num_agpr, 0
	.set _ZN2at6native45tensor_kernel_scan_innermost_dim_with_indicesIsSt13greater_equalIsEEEvPKT_PS4_PliijjS4_T0_.numbered_sgpr, 21
	.set _ZN2at6native45tensor_kernel_scan_innermost_dim_with_indicesIsSt13greater_equalIsEEEvPKT_PS4_PliijjS4_T0_.num_named_barrier, 0
	.set _ZN2at6native45tensor_kernel_scan_innermost_dim_with_indicesIsSt13greater_equalIsEEEvPKT_PS4_PliijjS4_T0_.private_seg_size, 0
	.set _ZN2at6native45tensor_kernel_scan_innermost_dim_with_indicesIsSt13greater_equalIsEEEvPKT_PS4_PliijjS4_T0_.uses_vcc, 1
	.set _ZN2at6native45tensor_kernel_scan_innermost_dim_with_indicesIsSt13greater_equalIsEEEvPKT_PS4_PliijjS4_T0_.uses_flat_scratch, 0
	.set _ZN2at6native45tensor_kernel_scan_innermost_dim_with_indicesIsSt13greater_equalIsEEEvPKT_PS4_PliijjS4_T0_.has_dyn_sized_stack, 0
	.set _ZN2at6native45tensor_kernel_scan_innermost_dim_with_indicesIsSt13greater_equalIsEEEvPKT_PS4_PliijjS4_T0_.has_recursion, 0
	.set _ZN2at6native45tensor_kernel_scan_innermost_dim_with_indicesIsSt13greater_equalIsEEEvPKT_PS4_PliijjS4_T0_.has_indirect_call, 0
	.section	.AMDGPU.csdata,"",@progbits
; Kernel info:
; codeLenInByte = 1216
; TotalNumSgprs: 23
; NumVgprs: 25
; ScratchSize: 0
; MemoryBound: 0
; FloatMode: 240
; IeeeMode: 1
; LDSByteSize: 0 bytes/workgroup (compile time only)
; SGPRBlocks: 0
; VGPRBlocks: 3
; NumSGPRsForWavesPerEU: 23
; NumVGPRsForWavesPerEU: 25
; Occupancy: 16
; WaveLimiterHint : 0
; COMPUTE_PGM_RSRC2:SCRATCH_EN: 0
; COMPUTE_PGM_RSRC2:USER_SGPR: 6
; COMPUTE_PGM_RSRC2:TRAP_HANDLER: 0
; COMPUTE_PGM_RSRC2:TGID_X_EN: 1
; COMPUTE_PGM_RSRC2:TGID_Y_EN: 0
; COMPUTE_PGM_RSRC2:TGID_Z_EN: 0
; COMPUTE_PGM_RSRC2:TIDIG_COMP_CNT: 1
	.section	.text._ZN2at6native41tensor_kernel_scan_outer_dim_with_indicesIsSt13greater_equalIsEEEvPKT_PS4_PljjjS4_T0_,"axG",@progbits,_ZN2at6native41tensor_kernel_scan_outer_dim_with_indicesIsSt13greater_equalIsEEEvPKT_PS4_PljjjS4_T0_,comdat
	.protected	_ZN2at6native41tensor_kernel_scan_outer_dim_with_indicesIsSt13greater_equalIsEEEvPKT_PS4_PljjjS4_T0_ ; -- Begin function _ZN2at6native41tensor_kernel_scan_outer_dim_with_indicesIsSt13greater_equalIsEEEvPKT_PS4_PljjjS4_T0_
	.globl	_ZN2at6native41tensor_kernel_scan_outer_dim_with_indicesIsSt13greater_equalIsEEEvPKT_PS4_PljjjS4_T0_
	.p2align	8
	.type	_ZN2at6native41tensor_kernel_scan_outer_dim_with_indicesIsSt13greater_equalIsEEEvPKT_PS4_PljjjS4_T0_,@function
_ZN2at6native41tensor_kernel_scan_outer_dim_with_indicesIsSt13greater_equalIsEEEvPKT_PS4_PljjjS4_T0_: ; @_ZN2at6native41tensor_kernel_scan_outer_dim_with_indicesIsSt13greater_equalIsEEEvPKT_PS4_PljjjS4_T0_
; %bb.0:
	s_load_dwordx4 s[8:11], s[4:5], 0x18
	s_waitcnt lgkmcnt(0)
	s_cmp_ge_u32 s6, s8
	s_cbranch_scc1 .LBB9_9
; %bb.1:
	s_clause 0x3
	s_load_dword s0, s[4:5], 0x34
	s_load_dword s1, s[4:5], 0x28
	s_load_dwordx4 s[12:15], s[4:5], 0x0
	s_load_dwordx2 s[2:3], s[4:5], 0x10
	s_add_u32 s4, s4, 40
	s_addc_u32 s5, s5, 0
	s_mul_i32 s18, s6, s10
	v_mov_b32_e32 v2, 0
	s_mov_b32 s17, 0
	s_mov_b32 s16, s9
	s_mul_i32 s22, s18, s9
	s_waitcnt lgkmcnt(0)
	s_and_b32 s26, s0, 0xffff
	s_cmp_lg_u32 s10, 0
	v_mad_u64_u32 v[0:1], null, s7, s26, v[0:1]
	s_mul_i32 s7, s1, s10
	s_cselect_b32 s27, -1, 0
	s_mul_i32 s7, s7, s9
	s_lshl_b64 s[18:19], s[16:17], 3
	s_lshl_b64 s[20:21], s[16:17], 1
	s_mov_b32 s16, s22
	v_cmp_gt_u32_e64 s0, s9, v0
	s_branch .LBB9_3
.LBB9_2:                                ;   in Loop: Header=BB9_3 Depth=1
	s_or_b32 exec_lo, exec_lo, s28
	s_add_i32 s6, s1, s6
	s_add_i32 s16, s16, s7
	s_cmp_ge_u32 s6, s8
	s_cbranch_scc1 .LBB9_9
.LBB9_3:                                ; =>This Loop Header: Depth=1
                                        ;     Child Loop BB9_6 Depth 2
                                        ;       Child Loop BB9_8 Depth 3
	s_and_saveexec_b32 s28, s0
	s_cbranch_execz .LBB9_2
; %bb.4:                                ;   in Loop: Header=BB9_3 Depth=1
	s_load_dword s31, s[4:5], 0x4
	s_lshl_b64 s[24:25], s[16:17], 3
	v_mov_b32_e32 v1, v0
	s_lshl_b64 s[22:23], s[16:17], 1
	s_add_u32 s29, s2, s24
	s_addc_u32 s30, s3, s25
	s_mov_b32 s33, 0
	s_waitcnt lgkmcnt(0)
	s_mul_i32 s31, s31, s26
	s_branch .LBB9_6
.LBB9_5:                                ;   in Loop: Header=BB9_6 Depth=2
	v_add_nc_u32_e32 v1, s31, v1
	v_cmp_le_u32_e32 vcc_lo, s9, v1
	s_or_b32 s33, vcc_lo, s33
	s_andn2_b32 exec_lo, exec_lo, s33
	s_cbranch_execz .LBB9_2
.LBB9_6:                                ;   Parent Loop BB9_3 Depth=1
                                        ; =>  This Loop Header: Depth=2
                                        ;       Child Loop BB9_8 Depth 3
	s_andn2_b32 vcc_lo, exec_lo, s27
	s_cbranch_vccnz .LBB9_5
; %bb.7:                                ;   in Loop: Header=BB9_6 Depth=2
	v_lshlrev_b64 v[3:4], 3, v[1:2]
	v_lshlrev_b64 v[5:6], 1, v[1:2]
	v_mov_b32_e32 v9, s11
	s_mov_b64 s[24:25], 0
	v_add_co_u32 v3, vcc_lo, s29, v3
	v_add_co_ci_u32_e64 v4, null, s30, v4, vcc_lo
	v_add_co_u32 v7, vcc_lo, s22, v5
	v_add_co_ci_u32_e64 v8, null, s23, v6, vcc_lo
	v_mov_b32_e32 v5, 0
	v_mov_b32_e32 v6, 0
	.p2align	6
.LBB9_8:                                ;   Parent Loop BB9_3 Depth=1
                                        ;     Parent Loop BB9_6 Depth=2
                                        ; =>    This Inner Loop Header: Depth=3
	v_add_co_u32 v10, vcc_lo, s12, v7
	v_add_co_ci_u32_e64 v11, null, s13, v8, vcc_lo
	global_load_ushort v12, v[10:11], off
	v_add_co_u32 v10, vcc_lo, s14, v7
	v_add_co_ci_u32_e64 v11, null, s15, v8, vcc_lo
	v_add_co_u32 v7, vcc_lo, v7, s20
	v_add_co_ci_u32_e64 v8, null, s21, v8, vcc_lo
	s_waitcnt vmcnt(0)
	v_cmp_lt_i16_e32 vcc_lo, v12, v9
	v_max_i16 v9, v12, v9
	v_cndmask_b32_e32 v6, s25, v6, vcc_lo
	v_cndmask_b32_e32 v5, s24, v5, vcc_lo
	s_add_u32 s24, s24, 1
	s_addc_u32 s25, s25, 0
	s_cmp_eq_u32 s10, s24
	global_store_short v[10:11], v9, off
	global_store_dwordx2 v[3:4], v[5:6], off
	v_add_co_u32 v3, vcc_lo, v3, s18
	v_add_co_ci_u32_e64 v4, null, s19, v4, vcc_lo
	s_cbranch_scc0 .LBB9_8
	s_branch .LBB9_5
.LBB9_9:
	s_endpgm
	.section	.rodata,"a",@progbits
	.p2align	6, 0x0
	.amdhsa_kernel _ZN2at6native41tensor_kernel_scan_outer_dim_with_indicesIsSt13greater_equalIsEEEvPKT_PS4_PljjjS4_T0_
		.amdhsa_group_segment_fixed_size 0
		.amdhsa_private_segment_fixed_size 0
		.amdhsa_kernarg_size 296
		.amdhsa_user_sgpr_count 6
		.amdhsa_user_sgpr_private_segment_buffer 1
		.amdhsa_user_sgpr_dispatch_ptr 0
		.amdhsa_user_sgpr_queue_ptr 0
		.amdhsa_user_sgpr_kernarg_segment_ptr 1
		.amdhsa_user_sgpr_dispatch_id 0
		.amdhsa_user_sgpr_flat_scratch_init 0
		.amdhsa_user_sgpr_private_segment_size 0
		.amdhsa_wavefront_size32 1
		.amdhsa_uses_dynamic_stack 0
		.amdhsa_system_sgpr_private_segment_wavefront_offset 0
		.amdhsa_system_sgpr_workgroup_id_x 1
		.amdhsa_system_sgpr_workgroup_id_y 1
		.amdhsa_system_sgpr_workgroup_id_z 0
		.amdhsa_system_sgpr_workgroup_info 0
		.amdhsa_system_vgpr_workitem_id 0
		.amdhsa_next_free_vgpr 13
		.amdhsa_next_free_sgpr 34
		.amdhsa_reserve_vcc 1
		.amdhsa_reserve_flat_scratch 0
		.amdhsa_float_round_mode_32 0
		.amdhsa_float_round_mode_16_64 0
		.amdhsa_float_denorm_mode_32 3
		.amdhsa_float_denorm_mode_16_64 3
		.amdhsa_dx10_clamp 1
		.amdhsa_ieee_mode 1
		.amdhsa_fp16_overflow 0
		.amdhsa_workgroup_processor_mode 1
		.amdhsa_memory_ordered 1
		.amdhsa_forward_progress 1
		.amdhsa_shared_vgpr_count 0
		.amdhsa_exception_fp_ieee_invalid_op 0
		.amdhsa_exception_fp_denorm_src 0
		.amdhsa_exception_fp_ieee_div_zero 0
		.amdhsa_exception_fp_ieee_overflow 0
		.amdhsa_exception_fp_ieee_underflow 0
		.amdhsa_exception_fp_ieee_inexact 0
		.amdhsa_exception_int_div_zero 0
	.end_amdhsa_kernel
	.section	.text._ZN2at6native41tensor_kernel_scan_outer_dim_with_indicesIsSt13greater_equalIsEEEvPKT_PS4_PljjjS4_T0_,"axG",@progbits,_ZN2at6native41tensor_kernel_scan_outer_dim_with_indicesIsSt13greater_equalIsEEEvPKT_PS4_PljjjS4_T0_,comdat
.Lfunc_end9:
	.size	_ZN2at6native41tensor_kernel_scan_outer_dim_with_indicesIsSt13greater_equalIsEEEvPKT_PS4_PljjjS4_T0_, .Lfunc_end9-_ZN2at6native41tensor_kernel_scan_outer_dim_with_indicesIsSt13greater_equalIsEEEvPKT_PS4_PljjjS4_T0_
                                        ; -- End function
	.set _ZN2at6native41tensor_kernel_scan_outer_dim_with_indicesIsSt13greater_equalIsEEEvPKT_PS4_PljjjS4_T0_.num_vgpr, 13
	.set _ZN2at6native41tensor_kernel_scan_outer_dim_with_indicesIsSt13greater_equalIsEEEvPKT_PS4_PljjjS4_T0_.num_agpr, 0
	.set _ZN2at6native41tensor_kernel_scan_outer_dim_with_indicesIsSt13greater_equalIsEEEvPKT_PS4_PljjjS4_T0_.numbered_sgpr, 34
	.set _ZN2at6native41tensor_kernel_scan_outer_dim_with_indicesIsSt13greater_equalIsEEEvPKT_PS4_PljjjS4_T0_.num_named_barrier, 0
	.set _ZN2at6native41tensor_kernel_scan_outer_dim_with_indicesIsSt13greater_equalIsEEEvPKT_PS4_PljjjS4_T0_.private_seg_size, 0
	.set _ZN2at6native41tensor_kernel_scan_outer_dim_with_indicesIsSt13greater_equalIsEEEvPKT_PS4_PljjjS4_T0_.uses_vcc, 1
	.set _ZN2at6native41tensor_kernel_scan_outer_dim_with_indicesIsSt13greater_equalIsEEEvPKT_PS4_PljjjS4_T0_.uses_flat_scratch, 0
	.set _ZN2at6native41tensor_kernel_scan_outer_dim_with_indicesIsSt13greater_equalIsEEEvPKT_PS4_PljjjS4_T0_.has_dyn_sized_stack, 0
	.set _ZN2at6native41tensor_kernel_scan_outer_dim_with_indicesIsSt13greater_equalIsEEEvPKT_PS4_PljjjS4_T0_.has_recursion, 0
	.set _ZN2at6native41tensor_kernel_scan_outer_dim_with_indicesIsSt13greater_equalIsEEEvPKT_PS4_PljjjS4_T0_.has_indirect_call, 0
	.section	.AMDGPU.csdata,"",@progbits
; Kernel info:
; codeLenInByte = 456
; TotalNumSgprs: 36
; NumVgprs: 13
; ScratchSize: 0
; MemoryBound: 0
; FloatMode: 240
; IeeeMode: 1
; LDSByteSize: 0 bytes/workgroup (compile time only)
; SGPRBlocks: 0
; VGPRBlocks: 1
; NumSGPRsForWavesPerEU: 36
; NumVGPRsForWavesPerEU: 13
; Occupancy: 16
; WaveLimiterHint : 0
; COMPUTE_PGM_RSRC2:SCRATCH_EN: 0
; COMPUTE_PGM_RSRC2:USER_SGPR: 6
; COMPUTE_PGM_RSRC2:TRAP_HANDLER: 0
; COMPUTE_PGM_RSRC2:TGID_X_EN: 1
; COMPUTE_PGM_RSRC2:TGID_Y_EN: 1
; COMPUTE_PGM_RSRC2:TGID_Z_EN: 0
; COMPUTE_PGM_RSRC2:TIDIG_COMP_CNT: 0
	.section	.text._ZN2at6native45tensor_kernel_scan_innermost_dim_with_indicesIdSt13greater_equalIdEEEvPKT_PS4_PliijjS4_T0_,"axG",@progbits,_ZN2at6native45tensor_kernel_scan_innermost_dim_with_indicesIdSt13greater_equalIdEEEvPKT_PS4_PliijjS4_T0_,comdat
	.protected	_ZN2at6native45tensor_kernel_scan_innermost_dim_with_indicesIdSt13greater_equalIdEEEvPKT_PS4_PliijjS4_T0_ ; -- Begin function _ZN2at6native45tensor_kernel_scan_innermost_dim_with_indicesIdSt13greater_equalIdEEEvPKT_PS4_PliijjS4_T0_
	.globl	_ZN2at6native45tensor_kernel_scan_innermost_dim_with_indicesIdSt13greater_equalIdEEEvPKT_PS4_PliijjS4_T0_
	.p2align	8
	.type	_ZN2at6native45tensor_kernel_scan_innermost_dim_with_indicesIdSt13greater_equalIdEEEvPKT_PS4_PliijjS4_T0_,@function
_ZN2at6native45tensor_kernel_scan_innermost_dim_with_indicesIdSt13greater_equalIdEEEvPKT_PS4_PliijjS4_T0_: ; @_ZN2at6native45tensor_kernel_scan_innermost_dim_with_indicesIdSt13greater_equalIdEEEvPKT_PS4_PliijjS4_T0_
; %bb.0:
	s_clause 0x1
	s_load_dword s2, s[4:5], 0x44
	s_load_dwordx4 s[8:11], s[4:5], 0x18
	s_add_u32 s0, s4, 56
	s_addc_u32 s1, s5, 0
	s_waitcnt lgkmcnt(0)
	s_lshr_b32 s2, s2, 16
	s_mul_i32 s16, s6, s2
	s_cmp_ge_i32 s16, s8
	s_cbranch_scc1 .LBB10_31
; %bb.1:
	s_lshl_b32 s17, 2, s11
	s_clause 0x2
	s_load_dwordx4 s[12:15], s[4:5], 0x0
	s_load_dwordx2 s[6:7], s[4:5], 0x10
	s_load_dwordx2 s[4:5], s[4:5], 0x28
	v_mul_lo_u32 v2, s17, v1
	s_load_dword s18, s[0:1], 0x0
	s_lshl_b32 s3, s10, 4
	v_lshlrev_b32_e32 v3, 3, v0
	s_lshl_b32 s10, 1, s11
	s_cmp_gt_i32 s9, 0
	v_cmp_eq_u32_e64 s0, 0, v0
	s_cselect_b32 s11, -1, 0
	v_lshlrev_b32_e32 v2, 3, v2
	s_lshl_b32 s1, s17, 3
	s_add_i32 s1, s1, -8
	v_add_nc_u32_e32 v10, 0, v2
	v_add3_u32 v11, 0, s3, v2
	s_lshl_b32 s3, s10, 3
	v_add_nc_u32_e32 v12, v10, v3
	v_add_nc_u32_e32 v13, v11, v3
	;; [unrolled: 1-line block ×4, first 2 shown]
	s_waitcnt lgkmcnt(0)
	s_mul_i32 s18, s18, s2
	v_add_nc_u32_e32 v16, s3, v12
	v_add_nc_u32_e32 v17, s3, v13
	s_branch .LBB10_3
.LBB10_2:                               ;   in Loop: Header=BB10_3 Depth=1
	s_add_i32 s16, s18, s16
	s_cmp_ge_i32 s16, s8
	s_cbranch_scc1 .LBB10_31
.LBB10_3:                               ; =>This Loop Header: Depth=1
                                        ;     Child Loop BB10_6 Depth 2
                                        ;       Child Loop BB10_21 Depth 3
	s_andn2_b32 vcc_lo, exec_lo, s11
	s_cbranch_vccnz .LBB10_2
; %bb.4:                                ;   in Loop: Header=BB10_3 Depth=1
	v_add_nc_u32_e32 v4, s16, v1
	v_mov_b32_e32 v6, 0
	v_mov_b32_e32 v9, s5
	;; [unrolled: 1-line block ×4, first 2 shown]
	v_mul_lo_u32 v2, v4, s9
	v_cmp_le_i32_e64 s1, s8, v4
	s_mov_b32 s19, 0
	v_cmp_gt_i32_e32 vcc_lo, s8, v4
	v_ashrrev_i32_e32 v3, 31, v2
	v_lshlrev_b64 v[2:3], 3, v[2:3]
	v_add_co_u32 v18, s2, s12, v2
	v_add_co_ci_u32_e64 v19, null, s13, v3, s2
	v_add_co_u32 v20, s2, s14, v2
	v_add_co_ci_u32_e64 v21, null, s15, v3, s2
	;; [unrolled: 2-line block ×3, first 2 shown]
	s_branch .LBB10_6
.LBB10_5:                               ;   in Loop: Header=BB10_6 Depth=2
	s_or_b32 exec_lo, exec_lo, s3
	ds_read_b64 v[8:9], v14
	ds_read_b64 v[6:7], v15
	s_add_i32 s19, s19, s17
	s_waitcnt lgkmcnt(0)
	s_waitcnt_vscnt null, 0x0
	s_cmp_ge_i32 s19, s9
	s_barrier
	buffer_gl0_inv
	s_cbranch_scc1 .LBB10_2
.LBB10_6:                               ;   Parent Loop BB10_3 Depth=1
                                        ; =>  This Loop Header: Depth=2
                                        ;       Child Loop BB10_21 Depth 3
	v_add_nc_u32_e32 v4, s19, v0
	v_add_nc_u32_e32 v2, s10, v4
	s_and_saveexec_b32 s20, vcc_lo
	s_cbranch_execz .LBB10_18
; %bb.7:                                ;   in Loop: Header=BB10_6 Depth=2
	v_cmp_le_i32_e64 s2, s9, v4
	s_and_saveexec_b32 s3, s2
	s_xor_b32 s2, exec_lo, s3
; %bb.8:                                ;   in Loop: Header=BB10_6 Depth=2
	v_mov_b32_e32 v25, s5
	v_mov_b32_e32 v24, s4
	ds_write_b64 v12, v[24:25]
; %bb.9:                                ;   in Loop: Header=BB10_6 Depth=2
	s_andn2_saveexec_b32 s3, s2
	s_cbranch_execz .LBB10_11
; %bb.10:                               ;   in Loop: Header=BB10_6 Depth=2
	v_ashrrev_i32_e32 v5, 31, v4
	v_lshlrev_b64 v[24:25], 3, v[4:5]
	v_add_co_u32 v24, s2, v18, v24
	v_add_co_ci_u32_e64 v25, null, v19, v25, s2
	global_load_dwordx2 v[24:25], v[24:25], off
	s_waitcnt vmcnt(0)
	ds_write_b64 v12, v[24:25]
	ds_write_b64 v13, v[4:5]
.LBB10_11:                              ;   in Loop: Header=BB10_6 Depth=2
	s_or_b32 exec_lo, exec_lo, s3
	v_cmp_le_i32_e64 s2, s9, v2
	s_and_saveexec_b32 s3, s2
	s_xor_b32 s2, exec_lo, s3
	s_cbranch_execnz .LBB10_14
; %bb.12:                               ;   in Loop: Header=BB10_6 Depth=2
	s_andn2_saveexec_b32 s3, s2
	s_cbranch_execnz .LBB10_15
.LBB10_13:                              ;   in Loop: Header=BB10_6 Depth=2
	s_or_b32 exec_lo, exec_lo, s3
	s_and_b32 exec_lo, exec_lo, s0
	s_cbranch_execnz .LBB10_16
	s_branch .LBB10_18
.LBB10_14:                              ;   in Loop: Header=BB10_6 Depth=2
	v_mov_b32_e32 v25, s5
	v_mov_b32_e32 v24, s4
	ds_write_b64 v16, v[24:25]
	s_andn2_saveexec_b32 s3, s2
	s_cbranch_execz .LBB10_13
.LBB10_15:                              ;   in Loop: Header=BB10_6 Depth=2
	v_ashrrev_i32_e32 v3, 31, v2
	v_lshlrev_b64 v[24:25], 3, v[2:3]
	v_add_co_u32 v24, s2, v18, v24
	v_add_co_ci_u32_e64 v25, null, v19, v25, s2
	global_load_dwordx2 v[24:25], v[24:25], off
	s_waitcnt vmcnt(0)
	ds_write_b64 v16, v[24:25]
	ds_write_b64 v17, v[2:3]
	s_or_b32 exec_lo, exec_lo, s3
	s_and_b32 exec_lo, exec_lo, s0
	s_cbranch_execz .LBB10_18
.LBB10_16:                              ;   in Loop: Header=BB10_6 Depth=2
	ds_read_b64 v[24:25], v10
	s_waitcnt lgkmcnt(0)
	v_cmp_o_f64_e64 s2, v[24:25], v[24:25]
	v_cmp_nge_f64_e64 s3, v[24:25], v[8:9]
	s_and_b32 s2, s2, s3
	s_and_b32 exec_lo, exec_lo, s2
	s_cbranch_execz .LBB10_18
; %bb.17:                               ;   in Loop: Header=BB10_6 Depth=2
	ds_write_b64 v10, v[8:9]
	ds_write_b64 v11, v[6:7]
.LBB10_18:                              ;   in Loop: Header=BB10_6 Depth=2
	s_or_b32 exec_lo, exec_lo, s20
	v_mov_b32_e32 v3, 1
	s_mov_b32 s20, 0
	s_waitcnt lgkmcnt(0)
	s_barrier
	buffer_gl0_inv
	s_branch .LBB10_21
.LBB10_19:                              ;   in Loop: Header=BB10_21 Depth=3
	s_or_b32 exec_lo, exec_lo, s2
	v_mov_b32_e32 v3, v7
.LBB10_20:                              ;   in Loop: Header=BB10_21 Depth=3
	s_or_b32 exec_lo, exec_lo, s21
	v_cmp_lt_u32_e64 s2, s10, v3
	s_waitcnt lgkmcnt(0)
	s_barrier
	buffer_gl0_inv
	s_or_b32 s20, s2, s20
	s_andn2_b32 exec_lo, exec_lo, s20
	s_cbranch_execz .LBB10_26
.LBB10_21:                              ;   Parent Loop BB10_3 Depth=1
                                        ;     Parent Loop BB10_6 Depth=2
                                        ; =>    This Inner Loop Header: Depth=3
	v_lshlrev_b32_e32 v7, 1, v3
	s_and_saveexec_b32 s2, s1
	s_xor_b32 s2, exec_lo, s2
; %bb.22:                               ;   in Loop: Header=BB10_21 Depth=3
	v_lshlrev_b32_e32 v3, 1, v3
                                        ; implicit-def: $vgpr7
; %bb.23:                               ;   in Loop: Header=BB10_21 Depth=3
	s_andn2_saveexec_b32 s21, s2
	s_cbranch_execz .LBB10_20
; %bb.24:                               ;   in Loop: Header=BB10_21 Depth=3
	v_ffbl_b32_e32 v5, v3
	v_add_nc_u32_e32 v8, -1, v3
	v_lshrrev_b32_e32 v5, v5, v0
	v_mad_u64_u32 v[5:6], null, v7, v5, v[3:4]
	v_and_b32_e32 v3, v8, v0
	v_add_nc_u32_e32 v3, v5, v3
	v_add_nc_u32_e32 v8, -1, v5
	v_lshl_add_u32 v9, v3, 3, v10
	v_lshl_add_u32 v5, v8, 3, v10
	ds_read_b64 v[24:25], v9
	ds_read_b64 v[5:6], v5
	s_waitcnt lgkmcnt(1)
	v_cmp_o_f64_e64 s2, v[24:25], v[24:25]
	s_waitcnt lgkmcnt(0)
	v_cmp_nge_f64_e64 s3, v[24:25], v[5:6]
	s_and_b32 s3, s2, s3
	s_and_saveexec_b32 s2, s3
	s_cbranch_execz .LBB10_19
; %bb.25:                               ;   in Loop: Header=BB10_21 Depth=3
	v_lshl_add_u32 v8, v8, 3, v11
	v_lshl_add_u32 v3, v3, 3, v11
	ds_read_b64 v[24:25], v8
	ds_write_b64 v9, v[5:6]
	s_waitcnt lgkmcnt(1)
	ds_write_b64 v3, v[24:25]
	s_branch .LBB10_19
.LBB10_26:                              ;   in Loop: Header=BB10_6 Depth=2
	s_or_b32 exec_lo, exec_lo, s20
	s_and_saveexec_b32 s3, vcc_lo
	s_cbranch_execz .LBB10_5
; %bb.27:                               ;   in Loop: Header=BB10_6 Depth=2
	s_mov_b32 s20, exec_lo
	v_cmpx_gt_i32_e64 s9, v4
	s_cbranch_execz .LBB10_29
; %bb.28:                               ;   in Loop: Header=BB10_6 Depth=2
	ds_read_b64 v[6:7], v12
	ds_read_b64 v[8:9], v13
	v_ashrrev_i32_e32 v5, 31, v4
	v_lshlrev_b64 v[3:4], 3, v[4:5]
	v_add_co_u32 v24, s2, v20, v3
	v_add_co_ci_u32_e64 v25, null, v21, v4, s2
	v_add_co_u32 v3, s2, v22, v3
	v_add_co_ci_u32_e64 v4, null, v23, v4, s2
	s_waitcnt lgkmcnt(1)
	global_store_dwordx2 v[24:25], v[6:7], off
	s_waitcnt lgkmcnt(0)
	global_store_dwordx2 v[3:4], v[8:9], off
.LBB10_29:                              ;   in Loop: Header=BB10_6 Depth=2
	s_or_b32 exec_lo, exec_lo, s20
	v_cmp_gt_i32_e64 s2, s9, v2
	s_and_b32 exec_lo, exec_lo, s2
	s_cbranch_execz .LBB10_5
; %bb.30:                               ;   in Loop: Header=BB10_6 Depth=2
	ds_read_b64 v[4:5], v16
	ds_read_b64 v[6:7], v17
	v_ashrrev_i32_e32 v3, 31, v2
	v_lshlrev_b64 v[2:3], 3, v[2:3]
	v_add_co_u32 v8, s2, v20, v2
	v_add_co_ci_u32_e64 v9, null, v21, v3, s2
	v_add_co_u32 v2, s2, v22, v2
	v_add_co_ci_u32_e64 v3, null, v23, v3, s2
	s_waitcnt lgkmcnt(1)
	global_store_dwordx2 v[8:9], v[4:5], off
	s_waitcnt lgkmcnt(0)
	global_store_dwordx2 v[2:3], v[6:7], off
	s_branch .LBB10_5
.LBB10_31:
	s_endpgm
	.section	.rodata,"a",@progbits
	.p2align	6, 0x0
	.amdhsa_kernel _ZN2at6native45tensor_kernel_scan_innermost_dim_with_indicesIdSt13greater_equalIdEEEvPKT_PS4_PliijjS4_T0_
		.amdhsa_group_segment_fixed_size 0
		.amdhsa_private_segment_fixed_size 0
		.amdhsa_kernarg_size 312
		.amdhsa_user_sgpr_count 6
		.amdhsa_user_sgpr_private_segment_buffer 1
		.amdhsa_user_sgpr_dispatch_ptr 0
		.amdhsa_user_sgpr_queue_ptr 0
		.amdhsa_user_sgpr_kernarg_segment_ptr 1
		.amdhsa_user_sgpr_dispatch_id 0
		.amdhsa_user_sgpr_flat_scratch_init 0
		.amdhsa_user_sgpr_private_segment_size 0
		.amdhsa_wavefront_size32 1
		.amdhsa_uses_dynamic_stack 0
		.amdhsa_system_sgpr_private_segment_wavefront_offset 0
		.amdhsa_system_sgpr_workgroup_id_x 1
		.amdhsa_system_sgpr_workgroup_id_y 0
		.amdhsa_system_sgpr_workgroup_id_z 0
		.amdhsa_system_sgpr_workgroup_info 0
		.amdhsa_system_vgpr_workitem_id 1
		.amdhsa_next_free_vgpr 26
		.amdhsa_next_free_sgpr 22
		.amdhsa_reserve_vcc 1
		.amdhsa_reserve_flat_scratch 0
		.amdhsa_float_round_mode_32 0
		.amdhsa_float_round_mode_16_64 0
		.amdhsa_float_denorm_mode_32 3
		.amdhsa_float_denorm_mode_16_64 3
		.amdhsa_dx10_clamp 1
		.amdhsa_ieee_mode 1
		.amdhsa_fp16_overflow 0
		.amdhsa_workgroup_processor_mode 1
		.amdhsa_memory_ordered 1
		.amdhsa_forward_progress 1
		.amdhsa_shared_vgpr_count 0
		.amdhsa_exception_fp_ieee_invalid_op 0
		.amdhsa_exception_fp_denorm_src 0
		.amdhsa_exception_fp_ieee_div_zero 0
		.amdhsa_exception_fp_ieee_overflow 0
		.amdhsa_exception_fp_ieee_underflow 0
		.amdhsa_exception_fp_ieee_inexact 0
		.amdhsa_exception_int_div_zero 0
	.end_amdhsa_kernel
	.section	.text._ZN2at6native45tensor_kernel_scan_innermost_dim_with_indicesIdSt13greater_equalIdEEEvPKT_PS4_PliijjS4_T0_,"axG",@progbits,_ZN2at6native45tensor_kernel_scan_innermost_dim_with_indicesIdSt13greater_equalIdEEEvPKT_PS4_PliijjS4_T0_,comdat
.Lfunc_end10:
	.size	_ZN2at6native45tensor_kernel_scan_innermost_dim_with_indicesIdSt13greater_equalIdEEEvPKT_PS4_PliijjS4_T0_, .Lfunc_end10-_ZN2at6native45tensor_kernel_scan_innermost_dim_with_indicesIdSt13greater_equalIdEEEvPKT_PS4_PliijjS4_T0_
                                        ; -- End function
	.set _ZN2at6native45tensor_kernel_scan_innermost_dim_with_indicesIdSt13greater_equalIdEEEvPKT_PS4_PliijjS4_T0_.num_vgpr, 26
	.set _ZN2at6native45tensor_kernel_scan_innermost_dim_with_indicesIdSt13greater_equalIdEEEvPKT_PS4_PliijjS4_T0_.num_agpr, 0
	.set _ZN2at6native45tensor_kernel_scan_innermost_dim_with_indicesIdSt13greater_equalIdEEEvPKT_PS4_PliijjS4_T0_.numbered_sgpr, 22
	.set _ZN2at6native45tensor_kernel_scan_innermost_dim_with_indicesIdSt13greater_equalIdEEEvPKT_PS4_PliijjS4_T0_.num_named_barrier, 0
	.set _ZN2at6native45tensor_kernel_scan_innermost_dim_with_indicesIdSt13greater_equalIdEEEvPKT_PS4_PliijjS4_T0_.private_seg_size, 0
	.set _ZN2at6native45tensor_kernel_scan_innermost_dim_with_indicesIdSt13greater_equalIdEEEvPKT_PS4_PliijjS4_T0_.uses_vcc, 1
	.set _ZN2at6native45tensor_kernel_scan_innermost_dim_with_indicesIdSt13greater_equalIdEEEvPKT_PS4_PliijjS4_T0_.uses_flat_scratch, 0
	.set _ZN2at6native45tensor_kernel_scan_innermost_dim_with_indicesIdSt13greater_equalIdEEEvPKT_PS4_PliijjS4_T0_.has_dyn_sized_stack, 0
	.set _ZN2at6native45tensor_kernel_scan_innermost_dim_with_indicesIdSt13greater_equalIdEEEvPKT_PS4_PliijjS4_T0_.has_recursion, 0
	.set _ZN2at6native45tensor_kernel_scan_innermost_dim_with_indicesIdSt13greater_equalIdEEEvPKT_PS4_PliijjS4_T0_.has_indirect_call, 0
	.section	.AMDGPU.csdata,"",@progbits
; Kernel info:
; codeLenInByte = 1152
; TotalNumSgprs: 24
; NumVgprs: 26
; ScratchSize: 0
; MemoryBound: 0
; FloatMode: 240
; IeeeMode: 1
; LDSByteSize: 0 bytes/workgroup (compile time only)
; SGPRBlocks: 0
; VGPRBlocks: 3
; NumSGPRsForWavesPerEU: 24
; NumVGPRsForWavesPerEU: 26
; Occupancy: 16
; WaveLimiterHint : 0
; COMPUTE_PGM_RSRC2:SCRATCH_EN: 0
; COMPUTE_PGM_RSRC2:USER_SGPR: 6
; COMPUTE_PGM_RSRC2:TRAP_HANDLER: 0
; COMPUTE_PGM_RSRC2:TGID_X_EN: 1
; COMPUTE_PGM_RSRC2:TGID_Y_EN: 0
; COMPUTE_PGM_RSRC2:TGID_Z_EN: 0
; COMPUTE_PGM_RSRC2:TIDIG_COMP_CNT: 1
	.section	.text._ZN2at6native41tensor_kernel_scan_outer_dim_with_indicesIdSt13greater_equalIdEEEvPKT_PS4_PljjjS4_T0_,"axG",@progbits,_ZN2at6native41tensor_kernel_scan_outer_dim_with_indicesIdSt13greater_equalIdEEEvPKT_PS4_PljjjS4_T0_,comdat
	.protected	_ZN2at6native41tensor_kernel_scan_outer_dim_with_indicesIdSt13greater_equalIdEEEvPKT_PS4_PljjjS4_T0_ ; -- Begin function _ZN2at6native41tensor_kernel_scan_outer_dim_with_indicesIdSt13greater_equalIdEEEvPKT_PS4_PljjjS4_T0_
	.globl	_ZN2at6native41tensor_kernel_scan_outer_dim_with_indicesIdSt13greater_equalIdEEEvPKT_PS4_PljjjS4_T0_
	.p2align	8
	.type	_ZN2at6native41tensor_kernel_scan_outer_dim_with_indicesIdSt13greater_equalIdEEEvPKT_PS4_PljjjS4_T0_,@function
_ZN2at6native41tensor_kernel_scan_outer_dim_with_indicesIdSt13greater_equalIdEEEvPKT_PS4_PljjjS4_T0_: ; @_ZN2at6native41tensor_kernel_scan_outer_dim_with_indicesIdSt13greater_equalIdEEEvPKT_PS4_PljjjS4_T0_
; %bb.0:
	s_load_dwordx4 s[8:11], s[4:5], 0x18
	s_waitcnt lgkmcnt(0)
	s_cmp_ge_u32 s6, s8
	s_cbranch_scc1 .LBB11_9
; %bb.1:
	s_clause 0x4
	s_load_dword s0, s[4:5], 0x44
	s_load_dword s3, s[4:5], 0x38
	s_load_dwordx2 s[16:17], s[4:5], 0x28
	s_load_dwordx4 s[12:15], s[4:5], 0x0
	s_load_dwordx2 s[18:19], s[4:5], 0x10
	s_add_u32 s4, s4, 56
	s_addc_u32 s5, s5, 0
	v_mov_b32_e32 v2, 0
	s_mov_b32 s21, 0
	s_mov_b32 s20, s9
	s_waitcnt lgkmcnt(0)
	s_and_b32 s11, s0, 0xffff
	s_mul_i32 s0, s6, s10
	v_mad_u64_u32 v[0:1], null, s7, s11, v[0:1]
	s_mul_i32 s1, s0, s9
	s_cmp_lg_u32 s10, 0
	s_mul_i32 s28, s3, s10
	s_cselect_b32 s7, -1, 0
	s_mul_i32 s28, s28, s9
	s_lshl_b64 s[22:23], s[20:21], 3
	v_cmp_gt_u32_e64 s0, s9, v0
	s_mov_b32 s20, s1
	s_branch .LBB11_3
.LBB11_2:                               ;   in Loop: Header=BB11_3 Depth=1
	s_or_b32 exec_lo, exec_lo, s29
	s_add_i32 s6, s3, s6
	s_add_i32 s20, s20, s28
	s_cmp_ge_u32 s6, s8
	s_cbranch_scc1 .LBB11_9
.LBB11_3:                               ; =>This Loop Header: Depth=1
                                        ;     Child Loop BB11_6 Depth 2
                                        ;       Child Loop BB11_8 Depth 3
	s_and_saveexec_b32 s29, s0
	s_cbranch_execz .LBB11_2
; %bb.4:                                ;   in Loop: Header=BB11_3 Depth=1
	s_load_dword s30, s[4:5], 0x4
	v_mov_b32_e32 v1, v0
	s_lshl_b64 s[24:25], s[20:21], 3
	s_mov_b32 s31, 0
	s_waitcnt lgkmcnt(0)
	s_mul_i32 s30, s30, s11
	s_branch .LBB11_6
.LBB11_5:                               ;   in Loop: Header=BB11_6 Depth=2
	s_inst_prefetch 0x2
	v_add_nc_u32_e32 v1, s30, v1
	v_cmp_le_u32_e32 vcc_lo, s9, v1
	s_or_b32 s31, vcc_lo, s31
	s_andn2_b32 exec_lo, exec_lo, s31
	s_cbranch_execz .LBB11_2
.LBB11_6:                               ;   Parent Loop BB11_3 Depth=1
                                        ; =>  This Loop Header: Depth=2
                                        ;       Child Loop BB11_8 Depth 3
	s_andn2_b32 vcc_lo, exec_lo, s7
	s_cbranch_vccnz .LBB11_5
; %bb.7:                                ;   in Loop: Header=BB11_6 Depth=2
	v_lshlrev_b64 v[5:6], 3, v[1:2]
	v_mov_b32_e32 v3, 0
	v_mov_b32_e32 v4, 0
	s_mov_b64 s[26:27], 0
	v_add_co_u32 v7, vcc_lo, s24, v5
	v_add_co_ci_u32_e64 v8, null, s25, v6, vcc_lo
	v_mov_b32_e32 v5, s16
	v_mov_b32_e32 v6, s17
	s_inst_prefetch 0x1
	.p2align	6
.LBB11_8:                               ;   Parent Loop BB11_3 Depth=1
                                        ;     Parent Loop BB11_6 Depth=2
                                        ; =>    This Inner Loop Header: Depth=3
	v_add_co_u32 v9, vcc_lo, s12, v7
	v_add_co_ci_u32_e64 v10, null, s13, v8, vcc_lo
	v_add_co_u32 v11, s2, s18, v7
	v_add_co_ci_u32_e64 v12, null, s19, v8, s2
	global_load_dwordx2 v[9:10], v[9:10], off
	v_add_co_u32 v13, s2, s14, v7
	v_add_co_ci_u32_e64 v14, null, s15, v8, s2
	v_add_co_u32 v7, s2, v7, s22
	v_add_co_ci_u32_e64 v8, null, s23, v8, s2
	s_waitcnt vmcnt(0)
	v_cmp_o_f64_e32 vcc_lo, v[9:10], v[9:10]
	v_cmp_nge_f64_e64 s1, v[9:10], v[5:6]
	s_and_b32 vcc_lo, vcc_lo, s1
	v_cndmask_b32_e32 v6, v10, v6, vcc_lo
	v_cndmask_b32_e32 v5, v9, v5, vcc_lo
	;; [unrolled: 1-line block ×4, first 2 shown]
	s_add_u32 s26, s26, 1
	s_addc_u32 s27, s27, 0
	s_cmp_eq_u32 s10, s26
	global_store_dwordx2 v[13:14], v[5:6], off
	global_store_dwordx2 v[11:12], v[3:4], off
	s_cbranch_scc0 .LBB11_8
	s_branch .LBB11_5
.LBB11_9:
	s_endpgm
	.section	.rodata,"a",@progbits
	.p2align	6, 0x0
	.amdhsa_kernel _ZN2at6native41tensor_kernel_scan_outer_dim_with_indicesIdSt13greater_equalIdEEEvPKT_PS4_PljjjS4_T0_
		.amdhsa_group_segment_fixed_size 0
		.amdhsa_private_segment_fixed_size 0
		.amdhsa_kernarg_size 312
		.amdhsa_user_sgpr_count 6
		.amdhsa_user_sgpr_private_segment_buffer 1
		.amdhsa_user_sgpr_dispatch_ptr 0
		.amdhsa_user_sgpr_queue_ptr 0
		.amdhsa_user_sgpr_kernarg_segment_ptr 1
		.amdhsa_user_sgpr_dispatch_id 0
		.amdhsa_user_sgpr_flat_scratch_init 0
		.amdhsa_user_sgpr_private_segment_size 0
		.amdhsa_wavefront_size32 1
		.amdhsa_uses_dynamic_stack 0
		.amdhsa_system_sgpr_private_segment_wavefront_offset 0
		.amdhsa_system_sgpr_workgroup_id_x 1
		.amdhsa_system_sgpr_workgroup_id_y 1
		.amdhsa_system_sgpr_workgroup_id_z 0
		.amdhsa_system_sgpr_workgroup_info 0
		.amdhsa_system_vgpr_workitem_id 0
		.amdhsa_next_free_vgpr 15
		.amdhsa_next_free_sgpr 32
		.amdhsa_reserve_vcc 1
		.amdhsa_reserve_flat_scratch 0
		.amdhsa_float_round_mode_32 0
		.amdhsa_float_round_mode_16_64 0
		.amdhsa_float_denorm_mode_32 3
		.amdhsa_float_denorm_mode_16_64 3
		.amdhsa_dx10_clamp 1
		.amdhsa_ieee_mode 1
		.amdhsa_fp16_overflow 0
		.amdhsa_workgroup_processor_mode 1
		.amdhsa_memory_ordered 1
		.amdhsa_forward_progress 1
		.amdhsa_shared_vgpr_count 0
		.amdhsa_exception_fp_ieee_invalid_op 0
		.amdhsa_exception_fp_denorm_src 0
		.amdhsa_exception_fp_ieee_div_zero 0
		.amdhsa_exception_fp_ieee_overflow 0
		.amdhsa_exception_fp_ieee_underflow 0
		.amdhsa_exception_fp_ieee_inexact 0
		.amdhsa_exception_int_div_zero 0
	.end_amdhsa_kernel
	.section	.text._ZN2at6native41tensor_kernel_scan_outer_dim_with_indicesIdSt13greater_equalIdEEEvPKT_PS4_PljjjS4_T0_,"axG",@progbits,_ZN2at6native41tensor_kernel_scan_outer_dim_with_indicesIdSt13greater_equalIdEEEvPKT_PS4_PljjjS4_T0_,comdat
.Lfunc_end11:
	.size	_ZN2at6native41tensor_kernel_scan_outer_dim_with_indicesIdSt13greater_equalIdEEEvPKT_PS4_PljjjS4_T0_, .Lfunc_end11-_ZN2at6native41tensor_kernel_scan_outer_dim_with_indicesIdSt13greater_equalIdEEEvPKT_PS4_PljjjS4_T0_
                                        ; -- End function
	.set _ZN2at6native41tensor_kernel_scan_outer_dim_with_indicesIdSt13greater_equalIdEEEvPKT_PS4_PljjjS4_T0_.num_vgpr, 15
	.set _ZN2at6native41tensor_kernel_scan_outer_dim_with_indicesIdSt13greater_equalIdEEEvPKT_PS4_PljjjS4_T0_.num_agpr, 0
	.set _ZN2at6native41tensor_kernel_scan_outer_dim_with_indicesIdSt13greater_equalIdEEEvPKT_PS4_PljjjS4_T0_.numbered_sgpr, 32
	.set _ZN2at6native41tensor_kernel_scan_outer_dim_with_indicesIdSt13greater_equalIdEEEvPKT_PS4_PljjjS4_T0_.num_named_barrier, 0
	.set _ZN2at6native41tensor_kernel_scan_outer_dim_with_indicesIdSt13greater_equalIdEEEvPKT_PS4_PljjjS4_T0_.private_seg_size, 0
	.set _ZN2at6native41tensor_kernel_scan_outer_dim_with_indicesIdSt13greater_equalIdEEEvPKT_PS4_PljjjS4_T0_.uses_vcc, 1
	.set _ZN2at6native41tensor_kernel_scan_outer_dim_with_indicesIdSt13greater_equalIdEEEvPKT_PS4_PljjjS4_T0_.uses_flat_scratch, 0
	.set _ZN2at6native41tensor_kernel_scan_outer_dim_with_indicesIdSt13greater_equalIdEEEvPKT_PS4_PljjjS4_T0_.has_dyn_sized_stack, 0
	.set _ZN2at6native41tensor_kernel_scan_outer_dim_with_indicesIdSt13greater_equalIdEEEvPKT_PS4_PljjjS4_T0_.has_recursion, 0
	.set _ZN2at6native41tensor_kernel_scan_outer_dim_with_indicesIdSt13greater_equalIdEEEvPKT_PS4_PljjjS4_T0_.has_indirect_call, 0
	.section	.AMDGPU.csdata,"",@progbits
; Kernel info:
; codeLenInByte = 468
; TotalNumSgprs: 34
; NumVgprs: 15
; ScratchSize: 0
; MemoryBound: 0
; FloatMode: 240
; IeeeMode: 1
; LDSByteSize: 0 bytes/workgroup (compile time only)
; SGPRBlocks: 0
; VGPRBlocks: 1
; NumSGPRsForWavesPerEU: 34
; NumVGPRsForWavesPerEU: 15
; Occupancy: 16
; WaveLimiterHint : 0
; COMPUTE_PGM_RSRC2:SCRATCH_EN: 0
; COMPUTE_PGM_RSRC2:USER_SGPR: 6
; COMPUTE_PGM_RSRC2:TRAP_HANDLER: 0
; COMPUTE_PGM_RSRC2:TGID_X_EN: 1
; COMPUTE_PGM_RSRC2:TGID_Y_EN: 1
; COMPUTE_PGM_RSRC2:TGID_Z_EN: 0
; COMPUTE_PGM_RSRC2:TIDIG_COMP_CNT: 0
	.section	.text._ZN2at6native45tensor_kernel_scan_innermost_dim_with_indicesIfSt13greater_equalIfEEEvPKT_PS4_PliijjS4_T0_,"axG",@progbits,_ZN2at6native45tensor_kernel_scan_innermost_dim_with_indicesIfSt13greater_equalIfEEEvPKT_PS4_PliijjS4_T0_,comdat
	.protected	_ZN2at6native45tensor_kernel_scan_innermost_dim_with_indicesIfSt13greater_equalIfEEEvPKT_PS4_PliijjS4_T0_ ; -- Begin function _ZN2at6native45tensor_kernel_scan_innermost_dim_with_indicesIfSt13greater_equalIfEEEvPKT_PS4_PliijjS4_T0_
	.globl	_ZN2at6native45tensor_kernel_scan_innermost_dim_with_indicesIfSt13greater_equalIfEEEvPKT_PS4_PliijjS4_T0_
	.p2align	8
	.type	_ZN2at6native45tensor_kernel_scan_innermost_dim_with_indicesIfSt13greater_equalIfEEEvPKT_PS4_PliijjS4_T0_,@function
_ZN2at6native45tensor_kernel_scan_innermost_dim_with_indicesIfSt13greater_equalIfEEEvPKT_PS4_PliijjS4_T0_: ; @_ZN2at6native45tensor_kernel_scan_innermost_dim_with_indicesIfSt13greater_equalIfEEEvPKT_PS4_PliijjS4_T0_
; %bb.0:
	s_clause 0x1
	s_load_dword s2, s[4:5], 0x3c
	s_load_dwordx4 s[8:11], s[4:5], 0x18
	s_add_u32 s0, s4, 48
	s_addc_u32 s1, s5, 0
	s_waitcnt lgkmcnt(0)
	s_lshr_b32 s2, s2, 16
	s_mul_i32 s6, s6, s2
	s_cmp_ge_i32 s6, s8
	s_cbranch_scc1 .LBB12_31
; %bb.1:
	s_lshl_b32 s7, 2, s11
	s_clause 0x2
	s_load_dword s16, s[4:5], 0x28
	s_load_dwordx4 s[12:15], s[4:5], 0x0
	s_load_dwordx2 s[4:5], s[4:5], 0x10
	s_load_dword s17, s[0:1], 0x0
	v_mul_lo_u32 v2, s7, v1
	s_lshl_b32 s0, s10, 3
	s_lshl_b32 s10, 1, s11
	s_cmp_gt_i32 s9, 0
	s_cselect_b32 s11, -1, 0
	s_add_i32 s1, s7, -1
	v_lshlrev_b32_e32 v3, 3, v2
	v_lshl_add_u32 v8, v2, 2, 0
	v_add3_u32 v9, 0, s0, v3
	v_lshl_add_u32 v10, v0, 2, v8
	v_cmp_eq_u32_e64 s0, 0, v0
	v_lshl_add_u32 v12, s1, 2, v8
	v_lshl_add_u32 v11, v0, 3, v9
	;; [unrolled: 1-line block ×4, first 2 shown]
	s_waitcnt lgkmcnt(0)
	s_mul_i32 s17, s17, s2
	v_lshl_add_u32 v15, s10, 3, v11
	s_branch .LBB12_3
.LBB12_2:                               ;   in Loop: Header=BB12_3 Depth=1
	s_add_i32 s6, s17, s6
	s_cmp_ge_i32 s6, s8
	s_cbranch_scc1 .LBB12_31
.LBB12_3:                               ; =>This Loop Header: Depth=1
                                        ;     Child Loop BB12_6 Depth 2
                                        ;       Child Loop BB12_21 Depth 3
	s_andn2_b32 vcc_lo, exec_lo, s11
	s_cbranch_vccnz .LBB12_2
; %bb.4:                                ;   in Loop: Header=BB12_3 Depth=1
	v_add_nc_u32_e32 v16, s6, v1
	v_mov_b32_e32 v6, 0
	v_mov_b32_e32 v7, 0
	;; [unrolled: 1-line block ×3, first 2 shown]
	s_mov_b32 s18, 0
	v_mul_lo_u32 v2, v16, s9
	v_cmp_gt_i32_e32 vcc_lo, s8, v16
	v_cmp_le_i32_e64 s1, s8, v16
	v_ashrrev_i32_e32 v3, 31, v2
	v_lshlrev_b64 v[4:5], 2, v[2:3]
	v_lshlrev_b64 v[2:3], 3, v[2:3]
	v_add_co_u32 v16, s2, s12, v4
	v_add_co_ci_u32_e64 v17, null, s13, v5, s2
	v_add_co_u32 v18, s2, s14, v4
	v_add_co_ci_u32_e64 v19, null, s15, v5, s2
	;; [unrolled: 2-line block ×3, first 2 shown]
	s_branch .LBB12_6
.LBB12_5:                               ;   in Loop: Header=BB12_6 Depth=2
	s_or_b32 exec_lo, exec_lo, s3
	ds_read_b32 v22, v12
	ds_read_b64 v[6:7], v14
	s_add_i32 s18, s18, s7
	s_waitcnt lgkmcnt(0)
	s_waitcnt_vscnt null, 0x0
	s_cmp_ge_i32 s18, s9
	s_barrier
	buffer_gl0_inv
	s_cbranch_scc1 .LBB12_2
.LBB12_6:                               ;   Parent Loop BB12_3 Depth=1
                                        ; =>  This Loop Header: Depth=2
                                        ;       Child Loop BB12_21 Depth 3
	v_add_nc_u32_e32 v4, s18, v0
	v_add_nc_u32_e32 v2, s10, v4
	s_and_saveexec_b32 s19, vcc_lo
	s_cbranch_execz .LBB12_18
; %bb.7:                                ;   in Loop: Header=BB12_6 Depth=2
	v_cmp_le_i32_e64 s2, s9, v4
	s_and_saveexec_b32 s3, s2
	s_xor_b32 s2, exec_lo, s3
; %bb.8:                                ;   in Loop: Header=BB12_6 Depth=2
	v_mov_b32_e32 v3, s16
	ds_write_b32 v10, v3
; %bb.9:                                ;   in Loop: Header=BB12_6 Depth=2
	s_andn2_saveexec_b32 s3, s2
	s_cbranch_execz .LBB12_11
; %bb.10:                               ;   in Loop: Header=BB12_6 Depth=2
	v_ashrrev_i32_e32 v5, 31, v4
	v_lshlrev_b64 v[23:24], 2, v[4:5]
	v_add_co_u32 v23, s2, v16, v23
	v_add_co_ci_u32_e64 v24, null, v17, v24, s2
	global_load_dword v3, v[23:24], off
	s_waitcnt vmcnt(0)
	ds_write_b32 v10, v3
	ds_write_b64 v11, v[4:5]
.LBB12_11:                              ;   in Loop: Header=BB12_6 Depth=2
	s_or_b32 exec_lo, exec_lo, s3
	v_cmp_le_i32_e64 s2, s9, v2
	s_and_saveexec_b32 s3, s2
	s_xor_b32 s2, exec_lo, s3
	s_cbranch_execnz .LBB12_14
; %bb.12:                               ;   in Loop: Header=BB12_6 Depth=2
	s_andn2_saveexec_b32 s3, s2
	s_cbranch_execnz .LBB12_15
.LBB12_13:                              ;   in Loop: Header=BB12_6 Depth=2
	s_or_b32 exec_lo, exec_lo, s3
	s_and_b32 exec_lo, exec_lo, s0
	s_cbranch_execnz .LBB12_16
	s_branch .LBB12_18
.LBB12_14:                              ;   in Loop: Header=BB12_6 Depth=2
	v_mov_b32_e32 v3, s16
	ds_write_b32 v13, v3
	s_andn2_saveexec_b32 s3, s2
	s_cbranch_execz .LBB12_13
.LBB12_15:                              ;   in Loop: Header=BB12_6 Depth=2
	v_ashrrev_i32_e32 v3, 31, v2
	v_lshlrev_b64 v[23:24], 2, v[2:3]
	v_add_co_u32 v23, s2, v16, v23
	v_add_co_ci_u32_e64 v24, null, v17, v24, s2
	global_load_dword v5, v[23:24], off
	s_waitcnt vmcnt(0)
	ds_write_b32 v13, v5
	ds_write_b64 v15, v[2:3]
	s_or_b32 exec_lo, exec_lo, s3
	s_and_b32 exec_lo, exec_lo, s0
	s_cbranch_execz .LBB12_18
.LBB12_16:                              ;   in Loop: Header=BB12_6 Depth=2
	ds_read_b32 v3, v8
	s_waitcnt lgkmcnt(0)
	v_cmp_o_f32_e64 s2, v3, v3
	v_cmp_nge_f32_e64 s3, v3, v22
	s_and_b32 s2, s2, s3
	s_and_b32 exec_lo, exec_lo, s2
	s_cbranch_execz .LBB12_18
; %bb.17:                               ;   in Loop: Header=BB12_6 Depth=2
	ds_write_b32 v8, v22
	ds_write_b64 v9, v[6:7]
.LBB12_18:                              ;   in Loop: Header=BB12_6 Depth=2
	s_or_b32 exec_lo, exec_lo, s19
	v_mov_b32_e32 v3, 1
	s_mov_b32 s19, 0
	s_waitcnt lgkmcnt(0)
	s_barrier
	buffer_gl0_inv
	s_branch .LBB12_21
.LBB12_19:                              ;   in Loop: Header=BB12_21 Depth=3
	s_or_b32 exec_lo, exec_lo, s2
	v_mov_b32_e32 v3, v5
.LBB12_20:                              ;   in Loop: Header=BB12_21 Depth=3
	s_or_b32 exec_lo, exec_lo, s20
	v_cmp_lt_u32_e64 s2, s10, v3
	s_waitcnt lgkmcnt(0)
	s_barrier
	buffer_gl0_inv
	s_or_b32 s19, s2, s19
	s_andn2_b32 exec_lo, exec_lo, s19
	s_cbranch_execz .LBB12_26
.LBB12_21:                              ;   Parent Loop BB12_3 Depth=1
                                        ;     Parent Loop BB12_6 Depth=2
                                        ; =>    This Inner Loop Header: Depth=3
	v_lshlrev_b32_e32 v5, 1, v3
	s_and_saveexec_b32 s2, s1
	s_xor_b32 s2, exec_lo, s2
; %bb.22:                               ;   in Loop: Header=BB12_21 Depth=3
	v_lshlrev_b32_e32 v3, 1, v3
                                        ; implicit-def: $vgpr5
; %bb.23:                               ;   in Loop: Header=BB12_21 Depth=3
	s_andn2_saveexec_b32 s20, s2
	s_cbranch_execz .LBB12_20
; %bb.24:                               ;   in Loop: Header=BB12_21 Depth=3
	v_ffbl_b32_e32 v6, v3
	v_add_nc_u32_e32 v22, -1, v3
	v_lshrrev_b32_e32 v6, v6, v0
	v_mad_u64_u32 v[6:7], null, v5, v6, v[3:4]
	v_and_b32_e32 v3, v22, v0
	v_add_nc_u32_e32 v3, v6, v3
	v_add_nc_u32_e32 v6, -1, v6
	v_lshl_add_u32 v7, v3, 2, v8
	v_lshl_add_u32 v22, v6, 2, v8
	ds_read_b32 v23, v7
	ds_read_b32 v22, v22
	s_waitcnt lgkmcnt(1)
	v_cmp_o_f32_e64 s2, v23, v23
	s_waitcnt lgkmcnt(0)
	v_cmp_nge_f32_e64 s3, v23, v22
	s_and_b32 s3, s2, s3
	s_and_saveexec_b32 s2, s3
	s_cbranch_execz .LBB12_19
; %bb.25:                               ;   in Loop: Header=BB12_21 Depth=3
	v_lshl_add_u32 v6, v6, 3, v9
	v_lshl_add_u32 v3, v3, 3, v9
	ds_read_b64 v[23:24], v6
	ds_write_b32 v7, v22
	s_waitcnt lgkmcnt(1)
	ds_write_b64 v3, v[23:24]
	s_branch .LBB12_19
.LBB12_26:                              ;   in Loop: Header=BB12_6 Depth=2
	s_or_b32 exec_lo, exec_lo, s19
	s_and_saveexec_b32 s3, vcc_lo
	s_cbranch_execz .LBB12_5
; %bb.27:                               ;   in Loop: Header=BB12_6 Depth=2
	s_mov_b32 s19, exec_lo
	v_cmpx_gt_i32_e64 s9, v4
	s_cbranch_execz .LBB12_29
; %bb.28:                               ;   in Loop: Header=BB12_6 Depth=2
	ds_read_b32 v24, v10
	ds_read_b64 v[6:7], v11
	v_ashrrev_i32_e32 v5, 31, v4
	v_lshlrev_b64 v[22:23], 2, v[4:5]
	v_lshlrev_b64 v[3:4], 3, v[4:5]
	v_add_co_u32 v22, s2, v18, v22
	v_add_co_ci_u32_e64 v23, null, v19, v23, s2
	v_add_co_u32 v3, s2, v20, v3
	v_add_co_ci_u32_e64 v4, null, v21, v4, s2
	s_waitcnt lgkmcnt(1)
	global_store_dword v[22:23], v24, off
	s_waitcnt lgkmcnt(0)
	global_store_dwordx2 v[3:4], v[6:7], off
.LBB12_29:                              ;   in Loop: Header=BB12_6 Depth=2
	s_or_b32 exec_lo, exec_lo, s19
	v_cmp_gt_i32_e64 s2, s9, v2
	s_and_b32 exec_lo, exec_lo, s2
	s_cbranch_execz .LBB12_5
; %bb.30:                               ;   in Loop: Header=BB12_6 Depth=2
	ds_read_b32 v22, v13
	ds_read_b64 v[4:5], v15
	v_ashrrev_i32_e32 v3, 31, v2
	v_lshlrev_b64 v[6:7], 2, v[2:3]
	v_lshlrev_b64 v[2:3], 3, v[2:3]
	v_add_co_u32 v6, s2, v18, v6
	v_add_co_ci_u32_e64 v7, null, v19, v7, s2
	v_add_co_u32 v2, s2, v20, v2
	v_add_co_ci_u32_e64 v3, null, v21, v3, s2
	s_waitcnt lgkmcnt(1)
	global_store_dword v[6:7], v22, off
	s_waitcnt lgkmcnt(0)
	global_store_dwordx2 v[2:3], v[4:5], off
	s_branch .LBB12_5
.LBB12_31:
	s_endpgm
	.section	.rodata,"a",@progbits
	.p2align	6, 0x0
	.amdhsa_kernel _ZN2at6native45tensor_kernel_scan_innermost_dim_with_indicesIfSt13greater_equalIfEEEvPKT_PS4_PliijjS4_T0_
		.amdhsa_group_segment_fixed_size 0
		.amdhsa_private_segment_fixed_size 0
		.amdhsa_kernarg_size 304
		.amdhsa_user_sgpr_count 6
		.amdhsa_user_sgpr_private_segment_buffer 1
		.amdhsa_user_sgpr_dispatch_ptr 0
		.amdhsa_user_sgpr_queue_ptr 0
		.amdhsa_user_sgpr_kernarg_segment_ptr 1
		.amdhsa_user_sgpr_dispatch_id 0
		.amdhsa_user_sgpr_flat_scratch_init 0
		.amdhsa_user_sgpr_private_segment_size 0
		.amdhsa_wavefront_size32 1
		.amdhsa_uses_dynamic_stack 0
		.amdhsa_system_sgpr_private_segment_wavefront_offset 0
		.amdhsa_system_sgpr_workgroup_id_x 1
		.amdhsa_system_sgpr_workgroup_id_y 0
		.amdhsa_system_sgpr_workgroup_id_z 0
		.amdhsa_system_sgpr_workgroup_info 0
		.amdhsa_system_vgpr_workitem_id 1
		.amdhsa_next_free_vgpr 25
		.amdhsa_next_free_sgpr 21
		.amdhsa_reserve_vcc 1
		.amdhsa_reserve_flat_scratch 0
		.amdhsa_float_round_mode_32 0
		.amdhsa_float_round_mode_16_64 0
		.amdhsa_float_denorm_mode_32 3
		.amdhsa_float_denorm_mode_16_64 3
		.amdhsa_dx10_clamp 1
		.amdhsa_ieee_mode 1
		.amdhsa_fp16_overflow 0
		.amdhsa_workgroup_processor_mode 1
		.amdhsa_memory_ordered 1
		.amdhsa_forward_progress 1
		.amdhsa_shared_vgpr_count 0
		.amdhsa_exception_fp_ieee_invalid_op 0
		.amdhsa_exception_fp_denorm_src 0
		.amdhsa_exception_fp_ieee_div_zero 0
		.amdhsa_exception_fp_ieee_overflow 0
		.amdhsa_exception_fp_ieee_underflow 0
		.amdhsa_exception_fp_ieee_inexact 0
		.amdhsa_exception_int_div_zero 0
	.end_amdhsa_kernel
	.section	.text._ZN2at6native45tensor_kernel_scan_innermost_dim_with_indicesIfSt13greater_equalIfEEEvPKT_PS4_PliijjS4_T0_,"axG",@progbits,_ZN2at6native45tensor_kernel_scan_innermost_dim_with_indicesIfSt13greater_equalIfEEEvPKT_PS4_PliijjS4_T0_,comdat
.Lfunc_end12:
	.size	_ZN2at6native45tensor_kernel_scan_innermost_dim_with_indicesIfSt13greater_equalIfEEEvPKT_PS4_PliijjS4_T0_, .Lfunc_end12-_ZN2at6native45tensor_kernel_scan_innermost_dim_with_indicesIfSt13greater_equalIfEEEvPKT_PS4_PliijjS4_T0_
                                        ; -- End function
	.set _ZN2at6native45tensor_kernel_scan_innermost_dim_with_indicesIfSt13greater_equalIfEEEvPKT_PS4_PliijjS4_T0_.num_vgpr, 25
	.set _ZN2at6native45tensor_kernel_scan_innermost_dim_with_indicesIfSt13greater_equalIfEEEvPKT_PS4_PliijjS4_T0_.num_agpr, 0
	.set _ZN2at6native45tensor_kernel_scan_innermost_dim_with_indicesIfSt13greater_equalIfEEEvPKT_PS4_PliijjS4_T0_.numbered_sgpr, 21
	.set _ZN2at6native45tensor_kernel_scan_innermost_dim_with_indicesIfSt13greater_equalIfEEEvPKT_PS4_PliijjS4_T0_.num_named_barrier, 0
	.set _ZN2at6native45tensor_kernel_scan_innermost_dim_with_indicesIfSt13greater_equalIfEEEvPKT_PS4_PliijjS4_T0_.private_seg_size, 0
	.set _ZN2at6native45tensor_kernel_scan_innermost_dim_with_indicesIfSt13greater_equalIfEEEvPKT_PS4_PliijjS4_T0_.uses_vcc, 1
	.set _ZN2at6native45tensor_kernel_scan_innermost_dim_with_indicesIfSt13greater_equalIfEEEvPKT_PS4_PliijjS4_T0_.uses_flat_scratch, 0
	.set _ZN2at6native45tensor_kernel_scan_innermost_dim_with_indicesIfSt13greater_equalIfEEEvPKT_PS4_PliijjS4_T0_.has_dyn_sized_stack, 0
	.set _ZN2at6native45tensor_kernel_scan_innermost_dim_with_indicesIfSt13greater_equalIfEEEvPKT_PS4_PliijjS4_T0_.has_recursion, 0
	.set _ZN2at6native45tensor_kernel_scan_innermost_dim_with_indicesIfSt13greater_equalIfEEEvPKT_PS4_PliijjS4_T0_.has_indirect_call, 0
	.section	.AMDGPU.csdata,"",@progbits
; Kernel info:
; codeLenInByte = 1180
; TotalNumSgprs: 23
; NumVgprs: 25
; ScratchSize: 0
; MemoryBound: 0
; FloatMode: 240
; IeeeMode: 1
; LDSByteSize: 0 bytes/workgroup (compile time only)
; SGPRBlocks: 0
; VGPRBlocks: 3
; NumSGPRsForWavesPerEU: 23
; NumVGPRsForWavesPerEU: 25
; Occupancy: 16
; WaveLimiterHint : 0
; COMPUTE_PGM_RSRC2:SCRATCH_EN: 0
; COMPUTE_PGM_RSRC2:USER_SGPR: 6
; COMPUTE_PGM_RSRC2:TRAP_HANDLER: 0
; COMPUTE_PGM_RSRC2:TGID_X_EN: 1
; COMPUTE_PGM_RSRC2:TGID_Y_EN: 0
; COMPUTE_PGM_RSRC2:TGID_Z_EN: 0
; COMPUTE_PGM_RSRC2:TIDIG_COMP_CNT: 1
	.section	.text._ZN2at6native41tensor_kernel_scan_outer_dim_with_indicesIfSt13greater_equalIfEEEvPKT_PS4_PljjjS4_T0_,"axG",@progbits,_ZN2at6native41tensor_kernel_scan_outer_dim_with_indicesIfSt13greater_equalIfEEEvPKT_PS4_PljjjS4_T0_,comdat
	.protected	_ZN2at6native41tensor_kernel_scan_outer_dim_with_indicesIfSt13greater_equalIfEEEvPKT_PS4_PljjjS4_T0_ ; -- Begin function _ZN2at6native41tensor_kernel_scan_outer_dim_with_indicesIfSt13greater_equalIfEEEvPKT_PS4_PljjjS4_T0_
	.globl	_ZN2at6native41tensor_kernel_scan_outer_dim_with_indicesIfSt13greater_equalIfEEEvPKT_PS4_PljjjS4_T0_
	.p2align	8
	.type	_ZN2at6native41tensor_kernel_scan_outer_dim_with_indicesIfSt13greater_equalIfEEEvPKT_PS4_PljjjS4_T0_,@function
_ZN2at6native41tensor_kernel_scan_outer_dim_with_indicesIfSt13greater_equalIfEEEvPKT_PS4_PljjjS4_T0_: ; @_ZN2at6native41tensor_kernel_scan_outer_dim_with_indicesIfSt13greater_equalIfEEEvPKT_PS4_PljjjS4_T0_
; %bb.0:
	s_load_dwordx4 s[8:11], s[4:5], 0x18
	s_waitcnt lgkmcnt(0)
	s_cmp_ge_u32 s6, s8
	s_cbranch_scc1 .LBB13_9
; %bb.1:
	s_clause 0x3
	s_load_dword s0, s[4:5], 0x3c
	s_load_dword s26, s[4:5], 0x30
	s_load_dwordx4 s[12:15], s[4:5], 0x0
	s_load_dwordx2 s[2:3], s[4:5], 0x10
	s_add_u32 s4, s4, 48
	s_addc_u32 s5, s5, 0
	s_mul_i32 s1, s6, s10
	v_mov_b32_e32 v2, 0
	s_mov_b32 s17, 0
	s_mov_b32 s16, s9
	s_mul_i32 s1, s1, s9
	s_waitcnt lgkmcnt(0)
	s_and_b32 s27, s0, 0xffff
	s_cmp_lg_u32 s10, 0
	v_mad_u64_u32 v[0:1], null, s7, s27, v[0:1]
	s_mul_i32 s7, s26, s10
	s_cselect_b32 s28, -1, 0
	s_mul_i32 s7, s7, s9
	s_lshl_b64 s[18:19], s[16:17], 3
	s_lshl_b64 s[20:21], s[16:17], 2
	s_mov_b32 s16, s1
	v_cmp_gt_u32_e64 s0, s9, v0
	s_branch .LBB13_3
.LBB13_2:                               ;   in Loop: Header=BB13_3 Depth=1
	s_or_b32 exec_lo, exec_lo, s29
	s_add_i32 s6, s26, s6
	s_add_i32 s16, s16, s7
	s_cmp_ge_u32 s6, s8
	s_cbranch_scc1 .LBB13_9
.LBB13_3:                               ; =>This Loop Header: Depth=1
                                        ;     Child Loop BB13_6 Depth 2
                                        ;       Child Loop BB13_8 Depth 3
	s_and_saveexec_b32 s29, s0
	s_cbranch_execz .LBB13_2
; %bb.4:                                ;   in Loop: Header=BB13_3 Depth=1
	s_load_dword s33, s[4:5], 0x4
	s_lshl_b64 s[24:25], s[16:17], 3
	v_mov_b32_e32 v1, v0
	s_lshl_b64 s[22:23], s[16:17], 2
	s_add_u32 s30, s2, s24
	s_addc_u32 s31, s3, s25
	s_mov_b32 s34, 0
	s_waitcnt lgkmcnt(0)
	s_mul_i32 s33, s33, s27
	s_branch .LBB13_6
.LBB13_5:                               ;   in Loop: Header=BB13_6 Depth=2
	s_inst_prefetch 0x2
	v_add_nc_u32_e32 v1, s33, v1
	v_cmp_le_u32_e32 vcc_lo, s9, v1
	s_or_b32 s34, vcc_lo, s34
	s_andn2_b32 exec_lo, exec_lo, s34
	s_cbranch_execz .LBB13_2
.LBB13_6:                               ;   Parent Loop BB13_3 Depth=1
                                        ; =>  This Loop Header: Depth=2
                                        ;       Child Loop BB13_8 Depth 3
	s_andn2_b32 vcc_lo, exec_lo, s28
	s_cbranch_vccnz .LBB13_5
; %bb.7:                                ;   in Loop: Header=BB13_6 Depth=2
	v_lshlrev_b64 v[3:4], 3, v[1:2]
	v_lshlrev_b64 v[5:6], 2, v[1:2]
	v_mov_b32_e32 v9, s11
	s_mov_b64 s[24:25], 0
	v_add_co_u32 v3, vcc_lo, s30, v3
	v_add_co_ci_u32_e64 v4, null, s31, v4, vcc_lo
	v_add_co_u32 v7, vcc_lo, s22, v5
	v_add_co_ci_u32_e64 v8, null, s23, v6, vcc_lo
	v_mov_b32_e32 v5, 0
	v_mov_b32_e32 v6, 0
	s_inst_prefetch 0x1
	.p2align	6
.LBB13_8:                               ;   Parent Loop BB13_3 Depth=1
                                        ;     Parent Loop BB13_6 Depth=2
                                        ; =>    This Inner Loop Header: Depth=3
	v_add_co_u32 v10, vcc_lo, s12, v7
	v_add_co_ci_u32_e64 v11, null, s13, v8, vcc_lo
	global_load_dword v12, v[10:11], off
	v_add_co_u32 v10, vcc_lo, s14, v7
	v_add_co_ci_u32_e64 v11, null, s15, v8, vcc_lo
	v_add_co_u32 v7, vcc_lo, v7, s20
	v_add_co_ci_u32_e64 v8, null, s21, v8, vcc_lo
	s_waitcnt vmcnt(0)
	v_cmp_o_f32_e32 vcc_lo, v12, v12
	v_cmp_nge_f32_e64 s1, v12, v9
	s_and_b32 vcc_lo, vcc_lo, s1
	v_cndmask_b32_e32 v6, s25, v6, vcc_lo
	v_cndmask_b32_e32 v5, s24, v5, vcc_lo
	v_cndmask_b32_e32 v9, v12, v9, vcc_lo
	s_add_u32 s24, s24, 1
	s_addc_u32 s25, s25, 0
	s_cmp_eq_u32 s10, s24
	global_store_dwordx2 v[3:4], v[5:6], off
	v_add_co_u32 v3, vcc_lo, v3, s18
	v_add_co_ci_u32_e64 v4, null, s19, v4, vcc_lo
	global_store_dword v[10:11], v9, off
	s_cbranch_scc0 .LBB13_8
	s_branch .LBB13_5
.LBB13_9:
	s_endpgm
	.section	.rodata,"a",@progbits
	.p2align	6, 0x0
	.amdhsa_kernel _ZN2at6native41tensor_kernel_scan_outer_dim_with_indicesIfSt13greater_equalIfEEEvPKT_PS4_PljjjS4_T0_
		.amdhsa_group_segment_fixed_size 0
		.amdhsa_private_segment_fixed_size 0
		.amdhsa_kernarg_size 304
		.amdhsa_user_sgpr_count 6
		.amdhsa_user_sgpr_private_segment_buffer 1
		.amdhsa_user_sgpr_dispatch_ptr 0
		.amdhsa_user_sgpr_queue_ptr 0
		.amdhsa_user_sgpr_kernarg_segment_ptr 1
		.amdhsa_user_sgpr_dispatch_id 0
		.amdhsa_user_sgpr_flat_scratch_init 0
		.amdhsa_user_sgpr_private_segment_size 0
		.amdhsa_wavefront_size32 1
		.amdhsa_uses_dynamic_stack 0
		.amdhsa_system_sgpr_private_segment_wavefront_offset 0
		.amdhsa_system_sgpr_workgroup_id_x 1
		.amdhsa_system_sgpr_workgroup_id_y 1
		.amdhsa_system_sgpr_workgroup_id_z 0
		.amdhsa_system_sgpr_workgroup_info 0
		.amdhsa_system_vgpr_workitem_id 0
		.amdhsa_next_free_vgpr 13
		.amdhsa_next_free_sgpr 35
		.amdhsa_reserve_vcc 1
		.amdhsa_reserve_flat_scratch 0
		.amdhsa_float_round_mode_32 0
		.amdhsa_float_round_mode_16_64 0
		.amdhsa_float_denorm_mode_32 3
		.amdhsa_float_denorm_mode_16_64 3
		.amdhsa_dx10_clamp 1
		.amdhsa_ieee_mode 1
		.amdhsa_fp16_overflow 0
		.amdhsa_workgroup_processor_mode 1
		.amdhsa_memory_ordered 1
		.amdhsa_forward_progress 1
		.amdhsa_shared_vgpr_count 0
		.amdhsa_exception_fp_ieee_invalid_op 0
		.amdhsa_exception_fp_denorm_src 0
		.amdhsa_exception_fp_ieee_div_zero 0
		.amdhsa_exception_fp_ieee_overflow 0
		.amdhsa_exception_fp_ieee_underflow 0
		.amdhsa_exception_fp_ieee_inexact 0
		.amdhsa_exception_int_div_zero 0
	.end_amdhsa_kernel
	.section	.text._ZN2at6native41tensor_kernel_scan_outer_dim_with_indicesIfSt13greater_equalIfEEEvPKT_PS4_PljjjS4_T0_,"axG",@progbits,_ZN2at6native41tensor_kernel_scan_outer_dim_with_indicesIfSt13greater_equalIfEEEvPKT_PS4_PljjjS4_T0_,comdat
.Lfunc_end13:
	.size	_ZN2at6native41tensor_kernel_scan_outer_dim_with_indicesIfSt13greater_equalIfEEEvPKT_PS4_PljjjS4_T0_, .Lfunc_end13-_ZN2at6native41tensor_kernel_scan_outer_dim_with_indicesIfSt13greater_equalIfEEEvPKT_PS4_PljjjS4_T0_
                                        ; -- End function
	.set _ZN2at6native41tensor_kernel_scan_outer_dim_with_indicesIfSt13greater_equalIfEEEvPKT_PS4_PljjjS4_T0_.num_vgpr, 13
	.set _ZN2at6native41tensor_kernel_scan_outer_dim_with_indicesIfSt13greater_equalIfEEEvPKT_PS4_PljjjS4_T0_.num_agpr, 0
	.set _ZN2at6native41tensor_kernel_scan_outer_dim_with_indicesIfSt13greater_equalIfEEEvPKT_PS4_PljjjS4_T0_.numbered_sgpr, 35
	.set _ZN2at6native41tensor_kernel_scan_outer_dim_with_indicesIfSt13greater_equalIfEEEvPKT_PS4_PljjjS4_T0_.num_named_barrier, 0
	.set _ZN2at6native41tensor_kernel_scan_outer_dim_with_indicesIfSt13greater_equalIfEEEvPKT_PS4_PljjjS4_T0_.private_seg_size, 0
	.set _ZN2at6native41tensor_kernel_scan_outer_dim_with_indicesIfSt13greater_equalIfEEEvPKT_PS4_PljjjS4_T0_.uses_vcc, 1
	.set _ZN2at6native41tensor_kernel_scan_outer_dim_with_indicesIfSt13greater_equalIfEEEvPKT_PS4_PljjjS4_T0_.uses_flat_scratch, 0
	.set _ZN2at6native41tensor_kernel_scan_outer_dim_with_indicesIfSt13greater_equalIfEEEvPKT_PS4_PljjjS4_T0_.has_dyn_sized_stack, 0
	.set _ZN2at6native41tensor_kernel_scan_outer_dim_with_indicesIfSt13greater_equalIfEEEvPKT_PS4_PljjjS4_T0_.has_recursion, 0
	.set _ZN2at6native41tensor_kernel_scan_outer_dim_with_indicesIfSt13greater_equalIfEEEvPKT_PS4_PljjjS4_T0_.has_indirect_call, 0
	.section	.AMDGPU.csdata,"",@progbits
; Kernel info:
; codeLenInByte = 464
; TotalNumSgprs: 37
; NumVgprs: 13
; ScratchSize: 0
; MemoryBound: 0
; FloatMode: 240
; IeeeMode: 1
; LDSByteSize: 0 bytes/workgroup (compile time only)
; SGPRBlocks: 0
; VGPRBlocks: 1
; NumSGPRsForWavesPerEU: 37
; NumVGPRsForWavesPerEU: 13
; Occupancy: 16
; WaveLimiterHint : 0
; COMPUTE_PGM_RSRC2:SCRATCH_EN: 0
; COMPUTE_PGM_RSRC2:USER_SGPR: 6
; COMPUTE_PGM_RSRC2:TRAP_HANDLER: 0
; COMPUTE_PGM_RSRC2:TGID_X_EN: 1
; COMPUTE_PGM_RSRC2:TGID_Y_EN: 1
; COMPUTE_PGM_RSRC2:TGID_Z_EN: 0
; COMPUTE_PGM_RSRC2:TIDIG_COMP_CNT: 0
	.section	.text._ZN2at6native45tensor_kernel_scan_innermost_dim_with_indicesIbSt13greater_equalIbEEEvPKT_PS4_PliijjS4_T0_,"axG",@progbits,_ZN2at6native45tensor_kernel_scan_innermost_dim_with_indicesIbSt13greater_equalIbEEEvPKT_PS4_PliijjS4_T0_,comdat
	.protected	_ZN2at6native45tensor_kernel_scan_innermost_dim_with_indicesIbSt13greater_equalIbEEEvPKT_PS4_PliijjS4_T0_ ; -- Begin function _ZN2at6native45tensor_kernel_scan_innermost_dim_with_indicesIbSt13greater_equalIbEEEvPKT_PS4_PliijjS4_T0_
	.globl	_ZN2at6native45tensor_kernel_scan_innermost_dim_with_indicesIbSt13greater_equalIbEEEvPKT_PS4_PliijjS4_T0_
	.p2align	8
	.type	_ZN2at6native45tensor_kernel_scan_innermost_dim_with_indicesIbSt13greater_equalIbEEEvPKT_PS4_PliijjS4_T0_,@function
_ZN2at6native45tensor_kernel_scan_innermost_dim_with_indicesIbSt13greater_equalIbEEEvPKT_PS4_PliijjS4_T0_: ; @_ZN2at6native45tensor_kernel_scan_innermost_dim_with_indicesIbSt13greater_equalIbEEEvPKT_PS4_PliijjS4_T0_
; %bb.0:
	s_clause 0x1
	s_load_dword s0, s[4:5], 0x3c
	s_load_dwordx4 s[8:11], s[4:5], 0x18
	s_add_u32 s2, s4, 48
	s_addc_u32 s3, s5, 0
	s_waitcnt lgkmcnt(0)
	s_lshr_b32 s1, s0, 16
	s_mul_i32 s6, s6, s1
	s_cmp_ge_i32 s6, s8
	s_cbranch_scc1 .LBB14_31
; %bb.1:
	s_clause 0x2
	s_load_dword s17, s[4:5], 0x28
	s_load_dwordx4 s[12:15], s[4:5], 0x0
	s_load_dwordx2 s[4:5], s[4:5], 0x10
	s_load_dword s18, s[2:3], 0x0
	v_cmp_eq_u32_e64 s0, 0, v0
	v_mov_b32_e32 v8, 1
	s_waitcnt lgkmcnt(0)
	s_bitcmp1_b32 s17, 0
	s_mul_i32 s18, s18, s1
	s_cselect_b32 s7, -1, 0
	s_lshl_b32 s16, 2, s11
	s_lshl_b32 s2, s10, 1
	v_mul_lo_u32 v2, s16, v1
	s_lshl_b32 s10, 1, s11
	s_and_b32 s17, s17, 1
	v_add_nc_u32_e32 v9, s10, v0
	s_cmp_gt_i32 s9, 0
	s_cselect_b32 s11, -1, 0
	v_lshlrev_b32_e32 v3, 3, v2
	v_add_nc_u32_e32 v10, 0, v2
	v_add3_u32 v11, 0, s2, v3
	v_add_nc_u32_e32 v2, s10, v10
	s_add_i32 s2, s16, -1
	v_add_nc_u32_e32 v13, v10, v0
	v_add_nc_u32_e32 v14, v10, v9
	v_lshl_add_u32 v12, v0, 3, v11
	v_lshl_add_u32 v15, s2, 3, v11
	v_add_nc_u32_e32 v16, v2, v0
	v_add_nc_u32_e32 v18, s2, v10
	v_lshl_add_u32 v17, s10, 3, v12
	s_branch .LBB14_3
.LBB14_2:                               ;   in Loop: Header=BB14_3 Depth=1
	s_add_i32 s6, s18, s6
	s_cmp_ge_i32 s6, s8
	s_cbranch_scc1 .LBB14_31
.LBB14_3:                               ; =>This Loop Header: Depth=1
                                        ;     Child Loop BB14_6 Depth 2
                                        ;       Child Loop BB14_21 Depth 3
	s_andn2_b32 vcc_lo, exec_lo, s11
	s_cbranch_vccnz .LBB14_2
; %bb.4:                                ;   in Loop: Header=BB14_3 Depth=1
	v_add_nc_u32_e32 v25, s6, v1
	v_mov_b32_e32 v6, 0
	v_mov_b32_e32 v7, 0
	s_mov_b32 s19, 0
	s_mov_b32 s3, s7
	v_mul_lo_u32 v2, v25, s9
	v_cmp_gt_i32_e32 vcc_lo, s8, v25
	v_ashrrev_i32_e32 v3, 31, v2
	v_add_co_u32 v19, s1, s12, v2
	v_lshlrev_b64 v[4:5], 3, v[2:3]
	v_add_co_ci_u32_e64 v20, null, s13, v3, s1
	v_add_co_u32 v21, s1, s14, v2
	v_add_co_ci_u32_e64 v22, null, s15, v3, s1
	v_add_co_u32 v23, s1, s4, v4
	v_add_co_ci_u32_e64 v24, null, s5, v5, s1
	v_cmp_le_i32_e64 s1, s8, v25
	s_branch .LBB14_6
.LBB14_5:                               ;   in Loop: Header=BB14_6 Depth=2
	s_or_b32 exec_lo, exec_lo, s3
	ds_read_u8 v2, v18
	ds_read_b64 v[6:7], v15
	s_add_i32 s19, s19, s16
	s_waitcnt lgkmcnt(0)
	s_waitcnt_vscnt null, 0x0
	s_cmp_ge_i32 s19, s9
	s_barrier
	buffer_gl0_inv
	v_and_b32_e32 v2, 1, v2
	v_cmp_eq_u32_e64 s3, 1, v2
	s_cbranch_scc1 .LBB14_2
.LBB14_6:                               ;   Parent Loop BB14_3 Depth=1
                                        ; =>  This Loop Header: Depth=2
                                        ;       Child Loop BB14_21 Depth 3
	v_add_nc_u32_e32 v4, s19, v0
	v_add_nc_u32_e32 v2, s19, v9
	s_and_saveexec_b32 s20, vcc_lo
	s_cbranch_execz .LBB14_18
; %bb.7:                                ;   in Loop: Header=BB14_6 Depth=2
	v_cmp_le_i32_e64 s2, s9, v4
	s_and_saveexec_b32 s21, s2
	s_xor_b32 s2, exec_lo, s21
; %bb.8:                                ;   in Loop: Header=BB14_6 Depth=2
	v_mov_b32_e32 v3, s17
	ds_write_b8 v13, v3
; %bb.9:                                ;   in Loop: Header=BB14_6 Depth=2
	s_andn2_saveexec_b32 s21, s2
	s_cbranch_execz .LBB14_11
; %bb.10:                               ;   in Loop: Header=BB14_6 Depth=2
	v_ashrrev_i32_e32 v5, 31, v4
	v_add_co_u32 v25, s2, v19, v4
	v_add_co_ci_u32_e64 v26, null, v20, v5, s2
	global_load_ubyte v3, v[25:26], off
	s_waitcnt vmcnt(0)
	v_cmp_ne_u16_e64 s2, 0, v3
	v_cndmask_b32_e64 v3, 0, 1, s2
	ds_write_b8 v13, v3
	ds_write_b64 v12, v[4:5]
.LBB14_11:                              ;   in Loop: Header=BB14_6 Depth=2
	s_or_b32 exec_lo, exec_lo, s21
	v_cmp_le_i32_e64 s2, s9, v2
	s_and_saveexec_b32 s21, s2
	s_xor_b32 s2, exec_lo, s21
	s_cbranch_execnz .LBB14_14
; %bb.12:                               ;   in Loop: Header=BB14_6 Depth=2
	s_andn2_saveexec_b32 s21, s2
	s_cbranch_execnz .LBB14_15
.LBB14_13:                              ;   in Loop: Header=BB14_6 Depth=2
	s_or_b32 exec_lo, exec_lo, s21
	s_and_b32 exec_lo, exec_lo, s0
	s_cbranch_execnz .LBB14_16
	s_branch .LBB14_18
.LBB14_14:                              ;   in Loop: Header=BB14_6 Depth=2
	v_mov_b32_e32 v3, s17
	ds_write_b8 v16, v3
	s_andn2_saveexec_b32 s21, s2
	s_cbranch_execz .LBB14_13
.LBB14_15:                              ;   in Loop: Header=BB14_6 Depth=2
	v_ashrrev_i32_e32 v3, 31, v2
	v_add_co_u32 v25, s2, v19, v2
	v_add_co_ci_u32_e64 v26, null, v20, v3, s2
	global_load_ubyte v5, v[25:26], off
	s_waitcnt vmcnt(0)
	v_cmp_ne_u16_e64 s2, 0, v5
	v_cndmask_b32_e64 v5, 0, 1, s2
	ds_write_b8 v14, v5
	ds_write_b64 v17, v[2:3]
	s_or_b32 exec_lo, exec_lo, s21
	s_and_b32 exec_lo, exec_lo, s0
	s_cbranch_execz .LBB14_18
.LBB14_16:                              ;   in Loop: Header=BB14_6 Depth=2
	ds_read_u8 v3, v10
	s_waitcnt lgkmcnt(0)
	v_cmp_eq_u16_e64 s2, 0, v3
	s_and_b32 s2, s3, s2
	s_and_b32 exec_lo, exec_lo, s2
	s_cbranch_execz .LBB14_18
; %bb.17:                               ;   in Loop: Header=BB14_6 Depth=2
	ds_write_b8 v10, v8
	ds_write_b64 v11, v[6:7]
.LBB14_18:                              ;   in Loop: Header=BB14_6 Depth=2
	s_or_b32 exec_lo, exec_lo, s20
	v_mov_b32_e32 v3, 1
	s_mov_b32 s20, 0
	s_waitcnt lgkmcnt(0)
	s_barrier
	buffer_gl0_inv
	s_branch .LBB14_21
.LBB14_19:                              ;   in Loop: Header=BB14_21 Depth=3
	s_or_b32 exec_lo, exec_lo, s2
	v_mov_b32_e32 v3, v5
.LBB14_20:                              ;   in Loop: Header=BB14_21 Depth=3
	s_or_b32 exec_lo, exec_lo, s21
	v_cmp_lt_u32_e64 s2, s10, v3
	s_waitcnt lgkmcnt(0)
	s_barrier
	buffer_gl0_inv
	s_or_b32 s20, s2, s20
	s_andn2_b32 exec_lo, exec_lo, s20
	s_cbranch_execz .LBB14_26
.LBB14_21:                              ;   Parent Loop BB14_3 Depth=1
                                        ;     Parent Loop BB14_6 Depth=2
                                        ; =>    This Inner Loop Header: Depth=3
	v_lshlrev_b32_e32 v5, 1, v3
	s_and_saveexec_b32 s2, s1
	s_xor_b32 s2, exec_lo, s2
; %bb.22:                               ;   in Loop: Header=BB14_21 Depth=3
	v_lshlrev_b32_e32 v3, 1, v3
                                        ; implicit-def: $vgpr5
; %bb.23:                               ;   in Loop: Header=BB14_21 Depth=3
	s_andn2_saveexec_b32 s21, s2
	s_cbranch_execz .LBB14_20
; %bb.24:                               ;   in Loop: Header=BB14_21 Depth=3
	v_ffbl_b32_e32 v6, v3
	v_lshrrev_b32_e32 v6, v6, v0
	v_mad_u64_u32 v[6:7], null, v5, v6, v[3:4]
	v_add_nc_u32_e32 v7, -1, v3
	v_and_b32_e32 v7, v7, v0
	v_add_nc_u32_e32 v3, -1, v6
	v_add_nc_u32_e32 v6, v6, v7
	v_add_nc_u32_e32 v25, v10, v3
	;; [unrolled: 1-line block ×3, first 2 shown]
	ds_read_u8 v25, v25
	ds_read_u8 v26, v7
	s_waitcnt lgkmcnt(1)
	v_and_b32_e32 v25, 1, v25
	s_waitcnt lgkmcnt(0)
	v_cmp_eq_u16_e64 s3, 0, v26
	v_cmp_eq_u32_e64 s2, 1, v25
	s_and_b32 s3, s3, s2
	s_and_saveexec_b32 s2, s3
	s_cbranch_execz .LBB14_19
; %bb.25:                               ;   in Loop: Header=BB14_21 Depth=3
	v_lshl_add_u32 v3, v3, 3, v11
	ds_read_b64 v[25:26], v3
	v_lshl_add_u32 v3, v6, 3, v11
	ds_write_b8 v7, v8
	s_waitcnt lgkmcnt(1)
	ds_write_b64 v3, v[25:26]
	s_branch .LBB14_19
.LBB14_26:                              ;   in Loop: Header=BB14_6 Depth=2
	s_or_b32 exec_lo, exec_lo, s20
	s_and_saveexec_b32 s3, vcc_lo
	s_cbranch_execz .LBB14_5
; %bb.27:                               ;   in Loop: Header=BB14_6 Depth=2
	s_mov_b32 s20, exec_lo
	v_cmpx_gt_i32_e64 s9, v4
	s_cbranch_execz .LBB14_29
; %bb.28:                               ;   in Loop: Header=BB14_6 Depth=2
	ds_read_u8 v27, v13
	ds_read_b64 v[6:7], v12
	v_ashrrev_i32_e32 v5, 31, v4
	v_add_co_u32 v3, s2, v21, v4
	v_lshlrev_b64 v[25:26], 3, v[4:5]
	v_add_co_ci_u32_e64 v4, null, v22, v5, s2
	v_add_co_u32 v25, s2, v23, v25
	v_add_co_ci_u32_e64 v26, null, v24, v26, s2
	s_waitcnt lgkmcnt(1)
	global_store_byte v[3:4], v27, off
	s_waitcnt lgkmcnt(0)
	global_store_dwordx2 v[25:26], v[6:7], off
.LBB14_29:                              ;   in Loop: Header=BB14_6 Depth=2
	s_or_b32 exec_lo, exec_lo, s20
	v_cmp_gt_i32_e64 s2, s9, v2
	s_and_b32 exec_lo, exec_lo, s2
	s_cbranch_execz .LBB14_5
; %bb.30:                               ;   in Loop: Header=BB14_6 Depth=2
	ds_read_u8 v25, v14
	ds_read_b64 v[4:5], v17
	v_ashrrev_i32_e32 v3, 31, v2
	v_lshlrev_b64 v[6:7], 3, v[2:3]
	v_add_co_u32 v2, s2, v21, v2
	v_add_co_ci_u32_e64 v3, null, v22, v3, s2
	v_add_co_u32 v6, s2, v23, v6
	v_add_co_ci_u32_e64 v7, null, v24, v7, s2
	s_waitcnt lgkmcnt(1)
	global_store_byte v[2:3], v25, off
	s_waitcnt lgkmcnt(0)
	global_store_dwordx2 v[6:7], v[4:5], off
	s_branch .LBB14_5
.LBB14_31:
	s_endpgm
	.section	.rodata,"a",@progbits
	.p2align	6, 0x0
	.amdhsa_kernel _ZN2at6native45tensor_kernel_scan_innermost_dim_with_indicesIbSt13greater_equalIbEEEvPKT_PS4_PliijjS4_T0_
		.amdhsa_group_segment_fixed_size 0
		.amdhsa_private_segment_fixed_size 0
		.amdhsa_kernarg_size 304
		.amdhsa_user_sgpr_count 6
		.amdhsa_user_sgpr_private_segment_buffer 1
		.amdhsa_user_sgpr_dispatch_ptr 0
		.amdhsa_user_sgpr_queue_ptr 0
		.amdhsa_user_sgpr_kernarg_segment_ptr 1
		.amdhsa_user_sgpr_dispatch_id 0
		.amdhsa_user_sgpr_flat_scratch_init 0
		.amdhsa_user_sgpr_private_segment_size 0
		.amdhsa_wavefront_size32 1
		.amdhsa_uses_dynamic_stack 0
		.amdhsa_system_sgpr_private_segment_wavefront_offset 0
		.amdhsa_system_sgpr_workgroup_id_x 1
		.amdhsa_system_sgpr_workgroup_id_y 0
		.amdhsa_system_sgpr_workgroup_id_z 0
		.amdhsa_system_sgpr_workgroup_info 0
		.amdhsa_system_vgpr_workitem_id 1
		.amdhsa_next_free_vgpr 28
		.amdhsa_next_free_sgpr 22
		.amdhsa_reserve_vcc 1
		.amdhsa_reserve_flat_scratch 0
		.amdhsa_float_round_mode_32 0
		.amdhsa_float_round_mode_16_64 0
		.amdhsa_float_denorm_mode_32 3
		.amdhsa_float_denorm_mode_16_64 3
		.amdhsa_dx10_clamp 1
		.amdhsa_ieee_mode 1
		.amdhsa_fp16_overflow 0
		.amdhsa_workgroup_processor_mode 1
		.amdhsa_memory_ordered 1
		.amdhsa_forward_progress 1
		.amdhsa_shared_vgpr_count 0
		.amdhsa_exception_fp_ieee_invalid_op 0
		.amdhsa_exception_fp_denorm_src 0
		.amdhsa_exception_fp_ieee_div_zero 0
		.amdhsa_exception_fp_ieee_overflow 0
		.amdhsa_exception_fp_ieee_underflow 0
		.amdhsa_exception_fp_ieee_inexact 0
		.amdhsa_exception_int_div_zero 0
	.end_amdhsa_kernel
	.section	.text._ZN2at6native45tensor_kernel_scan_innermost_dim_with_indicesIbSt13greater_equalIbEEEvPKT_PS4_PliijjS4_T0_,"axG",@progbits,_ZN2at6native45tensor_kernel_scan_innermost_dim_with_indicesIbSt13greater_equalIbEEEvPKT_PS4_PliijjS4_T0_,comdat
.Lfunc_end14:
	.size	_ZN2at6native45tensor_kernel_scan_innermost_dim_with_indicesIbSt13greater_equalIbEEEvPKT_PS4_PliijjS4_T0_, .Lfunc_end14-_ZN2at6native45tensor_kernel_scan_innermost_dim_with_indicesIbSt13greater_equalIbEEEvPKT_PS4_PliijjS4_T0_
                                        ; -- End function
	.set _ZN2at6native45tensor_kernel_scan_innermost_dim_with_indicesIbSt13greater_equalIbEEEvPKT_PS4_PliijjS4_T0_.num_vgpr, 28
	.set _ZN2at6native45tensor_kernel_scan_innermost_dim_with_indicesIbSt13greater_equalIbEEEvPKT_PS4_PliijjS4_T0_.num_agpr, 0
	.set _ZN2at6native45tensor_kernel_scan_innermost_dim_with_indicesIbSt13greater_equalIbEEEvPKT_PS4_PliijjS4_T0_.numbered_sgpr, 22
	.set _ZN2at6native45tensor_kernel_scan_innermost_dim_with_indicesIbSt13greater_equalIbEEEvPKT_PS4_PliijjS4_T0_.num_named_barrier, 0
	.set _ZN2at6native45tensor_kernel_scan_innermost_dim_with_indicesIbSt13greater_equalIbEEEvPKT_PS4_PliijjS4_T0_.private_seg_size, 0
	.set _ZN2at6native45tensor_kernel_scan_innermost_dim_with_indicesIbSt13greater_equalIbEEEvPKT_PS4_PliijjS4_T0_.uses_vcc, 1
	.set _ZN2at6native45tensor_kernel_scan_innermost_dim_with_indicesIbSt13greater_equalIbEEEvPKT_PS4_PliijjS4_T0_.uses_flat_scratch, 0
	.set _ZN2at6native45tensor_kernel_scan_innermost_dim_with_indicesIbSt13greater_equalIbEEEvPKT_PS4_PliijjS4_T0_.has_dyn_sized_stack, 0
	.set _ZN2at6native45tensor_kernel_scan_innermost_dim_with_indicesIbSt13greater_equalIbEEEvPKT_PS4_PliijjS4_T0_.has_recursion, 0
	.set _ZN2at6native45tensor_kernel_scan_innermost_dim_with_indicesIbSt13greater_equalIbEEEvPKT_PS4_PliijjS4_T0_.has_indirect_call, 0
	.section	.AMDGPU.csdata,"",@progbits
; Kernel info:
; codeLenInByte = 1184
; TotalNumSgprs: 24
; NumVgprs: 28
; ScratchSize: 0
; MemoryBound: 0
; FloatMode: 240
; IeeeMode: 1
; LDSByteSize: 0 bytes/workgroup (compile time only)
; SGPRBlocks: 0
; VGPRBlocks: 3
; NumSGPRsForWavesPerEU: 24
; NumVGPRsForWavesPerEU: 28
; Occupancy: 16
; WaveLimiterHint : 0
; COMPUTE_PGM_RSRC2:SCRATCH_EN: 0
; COMPUTE_PGM_RSRC2:USER_SGPR: 6
; COMPUTE_PGM_RSRC2:TRAP_HANDLER: 0
; COMPUTE_PGM_RSRC2:TGID_X_EN: 1
; COMPUTE_PGM_RSRC2:TGID_Y_EN: 0
; COMPUTE_PGM_RSRC2:TGID_Z_EN: 0
; COMPUTE_PGM_RSRC2:TIDIG_COMP_CNT: 1
	.section	.text._ZN2at6native41tensor_kernel_scan_outer_dim_with_indicesIbSt13greater_equalIbEEEvPKT_PS4_PljjjS4_T0_,"axG",@progbits,_ZN2at6native41tensor_kernel_scan_outer_dim_with_indicesIbSt13greater_equalIbEEEvPKT_PS4_PljjjS4_T0_,comdat
	.protected	_ZN2at6native41tensor_kernel_scan_outer_dim_with_indicesIbSt13greater_equalIbEEEvPKT_PS4_PljjjS4_T0_ ; -- Begin function _ZN2at6native41tensor_kernel_scan_outer_dim_with_indicesIbSt13greater_equalIbEEEvPKT_PS4_PljjjS4_T0_
	.globl	_ZN2at6native41tensor_kernel_scan_outer_dim_with_indicesIbSt13greater_equalIbEEEvPKT_PS4_PljjjS4_T0_
	.p2align	8
	.type	_ZN2at6native41tensor_kernel_scan_outer_dim_with_indicesIbSt13greater_equalIbEEEvPKT_PS4_PljjjS4_T0_,@function
_ZN2at6native41tensor_kernel_scan_outer_dim_with_indicesIbSt13greater_equalIbEEEvPKT_PS4_PljjjS4_T0_: ; @_ZN2at6native41tensor_kernel_scan_outer_dim_with_indicesIbSt13greater_equalIbEEEvPKT_PS4_PljjjS4_T0_
; %bb.0:
	s_load_dwordx4 s[8:11], s[4:5], 0x18
	s_waitcnt lgkmcnt(0)
	s_cmp_ge_u32 s6, s8
	s_cbranch_scc1 .LBB15_9
; %bb.1:
	s_clause 0x3
	s_load_dword s0, s[4:5], 0x34
	s_load_dword s1, s[4:5], 0x28
	s_load_dwordx4 s[12:15], s[4:5], 0x0
	s_load_dwordx2 s[2:3], s[4:5], 0x10
	s_and_b32 s11, s11, 1
	s_add_u32 s4, s4, 40
	s_addc_u32 s5, s5, 0
	s_mov_b32 s17, 0
	v_mov_b32_e32 v2, 0
	s_mov_b32 s18, s9
	s_mul_i32 s16, s6, s10
	s_mov_b32 s19, s17
	s_mul_i32 s16, s16, s9
	s_waitcnt lgkmcnt(0)
	s_and_b32 s24, s0, 0xffff
	s_cmp_lg_u32 s10, 0
	v_mad_u64_u32 v[0:1], null, s7, s24, v[0:1]
	s_mul_i32 s25, s1, s10
	s_cselect_b32 s7, -1, 0
	s_mul_i32 s25, s25, s9
	s_lshl_b64 s[20:21], s[18:19], 3
	v_cmp_gt_u32_e64 s0, s9, v0
	s_branch .LBB15_3
.LBB15_2:                               ;   in Loop: Header=BB15_3 Depth=1
	s_or_b32 exec_lo, exec_lo, s19
	s_add_i32 s6, s1, s6
	s_add_i32 s16, s16, s25
	s_cmp_ge_u32 s6, s8
	s_cbranch_scc1 .LBB15_9
.LBB15_3:                               ; =>This Loop Header: Depth=1
                                        ;     Child Loop BB15_6 Depth 2
                                        ;       Child Loop BB15_8 Depth 3
	s_and_saveexec_b32 s19, s0
	s_cbranch_execz .LBB15_2
; %bb.4:                                ;   in Loop: Header=BB15_3 Depth=1
	s_load_dword s28, s[4:5], 0x4
	s_lshl_b64 s[22:23], s[16:17], 3
	v_mov_b32_e32 v1, v0
	s_add_u32 s26, s2, s22
	s_addc_u32 s27, s3, s23
	s_mov_b32 s29, 0
	s_waitcnt lgkmcnt(0)
	s_mul_i32 s28, s28, s24
	s_branch .LBB15_6
.LBB15_5:                               ;   in Loop: Header=BB15_6 Depth=2
	s_inst_prefetch 0x2
	v_add_nc_u32_e32 v1, s28, v1
	v_cmp_le_u32_e32 vcc_lo, s9, v1
	s_or_b32 s29, vcc_lo, s29
	s_andn2_b32 exec_lo, exec_lo, s29
	s_cbranch_execz .LBB15_2
.LBB15_6:                               ;   Parent Loop BB15_3 Depth=1
                                        ; =>  This Loop Header: Depth=2
                                        ;       Child Loop BB15_8 Depth 3
	s_andn2_b32 vcc_lo, exec_lo, s7
	s_cbranch_vccnz .LBB15_5
; %bb.7:                                ;   in Loop: Header=BB15_6 Depth=2
	v_lshlrev_b64 v[3:4], 3, v[1:2]
	v_add_co_u32 v7, s22, s16, v1
	v_mov_b32_e32 v5, 0
	v_add_co_ci_u32_e64 v8, null, 0, 0, s22
	v_add_co_u32 v3, vcc_lo, s26, v3
	v_add_co_ci_u32_e64 v4, null, s27, v4, vcc_lo
	v_mov_b32_e32 v6, 0
	v_mov_b32_e32 v9, s11
	s_mov_b64 s[22:23], 0
	s_inst_prefetch 0x1
	.p2align	6
.LBB15_8:                               ;   Parent Loop BB15_3 Depth=1
                                        ;     Parent Loop BB15_6 Depth=2
                                        ; =>    This Inner Loop Header: Depth=3
	v_add_co_u32 v10, vcc_lo, s12, v7
	v_add_co_ci_u32_e64 v11, null, s13, v8, vcc_lo
	v_and_b32_e32 v9, 0xff, v9
	global_load_ubyte v12, v[10:11], off
	v_add_co_u32 v10, vcc_lo, s14, v7
	v_add_co_ci_u32_e64 v11, null, s15, v8, vcc_lo
	v_add_co_u32 v7, vcc_lo, v7, s18
	v_add_co_ci_u32_e64 v8, null, 0, v8, vcc_lo
	s_waitcnt vmcnt(0)
	v_cmp_ne_u16_e32 vcc_lo, 0, v12
	v_cndmask_b32_e64 v12, 0, 1, vcc_lo
	v_cmp_gt_u16_e32 vcc_lo, v9, v12
	v_max_u16 v9, v9, v12
	v_cndmask_b32_e32 v6, s23, v6, vcc_lo
	v_cndmask_b32_e32 v5, s22, v5, vcc_lo
	s_add_u32 s22, s22, 1
	s_addc_u32 s23, s23, 0
	s_cmp_eq_u32 s10, s22
	global_store_byte v[10:11], v9, off
	global_store_dwordx2 v[3:4], v[5:6], off
	v_add_co_u32 v3, vcc_lo, v3, s20
	v_add_co_ci_u32_e64 v4, null, s21, v4, vcc_lo
	s_cbranch_scc0 .LBB15_8
	s_branch .LBB15_5
.LBB15_9:
	s_endpgm
	.section	.rodata,"a",@progbits
	.p2align	6, 0x0
	.amdhsa_kernel _ZN2at6native41tensor_kernel_scan_outer_dim_with_indicesIbSt13greater_equalIbEEEvPKT_PS4_PljjjS4_T0_
		.amdhsa_group_segment_fixed_size 0
		.amdhsa_private_segment_fixed_size 0
		.amdhsa_kernarg_size 296
		.amdhsa_user_sgpr_count 6
		.amdhsa_user_sgpr_private_segment_buffer 1
		.amdhsa_user_sgpr_dispatch_ptr 0
		.amdhsa_user_sgpr_queue_ptr 0
		.amdhsa_user_sgpr_kernarg_segment_ptr 1
		.amdhsa_user_sgpr_dispatch_id 0
		.amdhsa_user_sgpr_flat_scratch_init 0
		.amdhsa_user_sgpr_private_segment_size 0
		.amdhsa_wavefront_size32 1
		.amdhsa_uses_dynamic_stack 0
		.amdhsa_system_sgpr_private_segment_wavefront_offset 0
		.amdhsa_system_sgpr_workgroup_id_x 1
		.amdhsa_system_sgpr_workgroup_id_y 1
		.amdhsa_system_sgpr_workgroup_id_z 0
		.amdhsa_system_sgpr_workgroup_info 0
		.amdhsa_system_vgpr_workitem_id 0
		.amdhsa_next_free_vgpr 13
		.amdhsa_next_free_sgpr 30
		.amdhsa_reserve_vcc 1
		.amdhsa_reserve_flat_scratch 0
		.amdhsa_float_round_mode_32 0
		.amdhsa_float_round_mode_16_64 0
		.amdhsa_float_denorm_mode_32 3
		.amdhsa_float_denorm_mode_16_64 3
		.amdhsa_dx10_clamp 1
		.amdhsa_ieee_mode 1
		.amdhsa_fp16_overflow 0
		.amdhsa_workgroup_processor_mode 1
		.amdhsa_memory_ordered 1
		.amdhsa_forward_progress 1
		.amdhsa_shared_vgpr_count 0
		.amdhsa_exception_fp_ieee_invalid_op 0
		.amdhsa_exception_fp_denorm_src 0
		.amdhsa_exception_fp_ieee_div_zero 0
		.amdhsa_exception_fp_ieee_overflow 0
		.amdhsa_exception_fp_ieee_underflow 0
		.amdhsa_exception_fp_ieee_inexact 0
		.amdhsa_exception_int_div_zero 0
	.end_amdhsa_kernel
	.section	.text._ZN2at6native41tensor_kernel_scan_outer_dim_with_indicesIbSt13greater_equalIbEEEvPKT_PS4_PljjjS4_T0_,"axG",@progbits,_ZN2at6native41tensor_kernel_scan_outer_dim_with_indicesIbSt13greater_equalIbEEEvPKT_PS4_PljjjS4_T0_,comdat
.Lfunc_end15:
	.size	_ZN2at6native41tensor_kernel_scan_outer_dim_with_indicesIbSt13greater_equalIbEEEvPKT_PS4_PljjjS4_T0_, .Lfunc_end15-_ZN2at6native41tensor_kernel_scan_outer_dim_with_indicesIbSt13greater_equalIbEEEvPKT_PS4_PljjjS4_T0_
                                        ; -- End function
	.set _ZN2at6native41tensor_kernel_scan_outer_dim_with_indicesIbSt13greater_equalIbEEEvPKT_PS4_PljjjS4_T0_.num_vgpr, 13
	.set _ZN2at6native41tensor_kernel_scan_outer_dim_with_indicesIbSt13greater_equalIbEEEvPKT_PS4_PljjjS4_T0_.num_agpr, 0
	.set _ZN2at6native41tensor_kernel_scan_outer_dim_with_indicesIbSt13greater_equalIbEEEvPKT_PS4_PljjjS4_T0_.numbered_sgpr, 30
	.set _ZN2at6native41tensor_kernel_scan_outer_dim_with_indicesIbSt13greater_equalIbEEEvPKT_PS4_PljjjS4_T0_.num_named_barrier, 0
	.set _ZN2at6native41tensor_kernel_scan_outer_dim_with_indicesIbSt13greater_equalIbEEEvPKT_PS4_PljjjS4_T0_.private_seg_size, 0
	.set _ZN2at6native41tensor_kernel_scan_outer_dim_with_indicesIbSt13greater_equalIbEEEvPKT_PS4_PljjjS4_T0_.uses_vcc, 1
	.set _ZN2at6native41tensor_kernel_scan_outer_dim_with_indicesIbSt13greater_equalIbEEEvPKT_PS4_PljjjS4_T0_.uses_flat_scratch, 0
	.set _ZN2at6native41tensor_kernel_scan_outer_dim_with_indicesIbSt13greater_equalIbEEEvPKT_PS4_PljjjS4_T0_.has_dyn_sized_stack, 0
	.set _ZN2at6native41tensor_kernel_scan_outer_dim_with_indicesIbSt13greater_equalIbEEEvPKT_PS4_PljjjS4_T0_.has_recursion, 0
	.set _ZN2at6native41tensor_kernel_scan_outer_dim_with_indicesIbSt13greater_equalIbEEEvPKT_PS4_PljjjS4_T0_.has_indirect_call, 0
	.section	.AMDGPU.csdata,"",@progbits
; Kernel info:
; codeLenInByte = 476
; TotalNumSgprs: 32
; NumVgprs: 13
; ScratchSize: 0
; MemoryBound: 0
; FloatMode: 240
; IeeeMode: 1
; LDSByteSize: 0 bytes/workgroup (compile time only)
; SGPRBlocks: 0
; VGPRBlocks: 1
; NumSGPRsForWavesPerEU: 32
; NumVGPRsForWavesPerEU: 13
; Occupancy: 16
; WaveLimiterHint : 0
; COMPUTE_PGM_RSRC2:SCRATCH_EN: 0
; COMPUTE_PGM_RSRC2:USER_SGPR: 6
; COMPUTE_PGM_RSRC2:TRAP_HANDLER: 0
; COMPUTE_PGM_RSRC2:TGID_X_EN: 1
; COMPUTE_PGM_RSRC2:TGID_Y_EN: 1
; COMPUTE_PGM_RSRC2:TGID_Z_EN: 0
; COMPUTE_PGM_RSRC2:TIDIG_COMP_CNT: 0
	.section	.text._ZN2at6native45tensor_kernel_scan_innermost_dim_with_indicesIN3c104HalfESt13greater_equalIS3_EEEvPKT_PS6_PliijjS6_T0_,"axG",@progbits,_ZN2at6native45tensor_kernel_scan_innermost_dim_with_indicesIN3c104HalfESt13greater_equalIS3_EEEvPKT_PS6_PliijjS6_T0_,comdat
	.protected	_ZN2at6native45tensor_kernel_scan_innermost_dim_with_indicesIN3c104HalfESt13greater_equalIS3_EEEvPKT_PS6_PliijjS6_T0_ ; -- Begin function _ZN2at6native45tensor_kernel_scan_innermost_dim_with_indicesIN3c104HalfESt13greater_equalIS3_EEEvPKT_PS6_PliijjS6_T0_
	.globl	_ZN2at6native45tensor_kernel_scan_innermost_dim_with_indicesIN3c104HalfESt13greater_equalIS3_EEEvPKT_PS6_PliijjS6_T0_
	.p2align	8
	.type	_ZN2at6native45tensor_kernel_scan_innermost_dim_with_indicesIN3c104HalfESt13greater_equalIS3_EEEvPKT_PS6_PliijjS6_T0_,@function
_ZN2at6native45tensor_kernel_scan_innermost_dim_with_indicesIN3c104HalfESt13greater_equalIS3_EEEvPKT_PS6_PliijjS6_T0_: ; @_ZN2at6native45tensor_kernel_scan_innermost_dim_with_indicesIN3c104HalfESt13greater_equalIS3_EEEvPKT_PS6_PliijjS6_T0_
; %bb.0:
	s_clause 0x1
	s_load_dword s2, s[4:5], 0x3c
	s_load_dwordx4 s[8:11], s[4:5], 0x18
	s_add_u32 s0, s4, 48
	s_addc_u32 s1, s5, 0
	s_waitcnt lgkmcnt(0)
	s_lshr_b32 s2, s2, 16
	s_mul_i32 s6, s6, s2
	s_cmp_ge_i32 s6, s8
	s_cbranch_scc1 .LBB16_31
; %bb.1:
	s_lshl_b32 s7, 2, s11
	s_clause 0x2
	s_load_dword s16, s[4:5], 0x28
	s_load_dwordx4 s[12:15], s[4:5], 0x0
	s_load_dwordx2 s[4:5], s[4:5], 0x10
	s_load_dword s17, s[0:1], 0x0
	v_mul_lo_u32 v2, s7, v1
	s_lshl_b32 s0, s10, 2
	s_lshl_b32 s10, 1, s11
	s_cmp_gt_i32 s9, 0
	s_cselect_b32 s11, -1, 0
	s_add_i32 s1, s7, -1
	v_lshlrev_b32_e32 v3, 3, v2
	v_lshl_add_u32 v8, v2, 1, 0
	v_add3_u32 v9, 0, s0, v3
	v_lshl_add_u32 v10, v0, 1, v8
	v_cmp_eq_u32_e64 s0, 0, v0
	v_lshl_add_u32 v12, s1, 1, v8
	v_lshl_add_u32 v11, v0, 3, v9
	v_lshl_add_u32 v13, s10, 1, v10
	v_lshl_add_u32 v14, s1, 3, v9
	s_waitcnt lgkmcnt(0)
	s_mul_i32 s17, s17, s2
	v_lshl_add_u32 v15, s10, 3, v11
	s_branch .LBB16_3
.LBB16_2:                               ;   in Loop: Header=BB16_3 Depth=1
	s_add_i32 s6, s17, s6
	s_cmp_ge_i32 s6, s8
	s_cbranch_scc1 .LBB16_31
.LBB16_3:                               ; =>This Loop Header: Depth=1
                                        ;     Child Loop BB16_6 Depth 2
                                        ;       Child Loop BB16_21 Depth 3
	s_andn2_b32 vcc_lo, exec_lo, s11
	s_cbranch_vccnz .LBB16_2
; %bb.4:                                ;   in Loop: Header=BB16_3 Depth=1
	v_add_nc_u32_e32 v16, s6, v1
	v_mov_b32_e32 v6, 0
	v_mov_b32_e32 v7, 0
	;; [unrolled: 1-line block ×3, first 2 shown]
	s_mov_b32 s18, 0
	v_mul_lo_u32 v2, v16, s9
	v_cmp_gt_i32_e32 vcc_lo, s8, v16
	v_cmp_le_i32_e64 s1, s8, v16
	v_ashrrev_i32_e32 v3, 31, v2
	v_lshlrev_b64 v[4:5], 1, v[2:3]
	v_lshlrev_b64 v[2:3], 3, v[2:3]
	v_add_co_u32 v16, s2, s12, v4
	v_add_co_ci_u32_e64 v17, null, s13, v5, s2
	v_add_co_u32 v18, s2, s14, v4
	v_add_co_ci_u32_e64 v19, null, s15, v5, s2
	;; [unrolled: 2-line block ×3, first 2 shown]
	s_branch .LBB16_6
.LBB16_5:                               ;   in Loop: Header=BB16_6 Depth=2
	s_or_b32 exec_lo, exec_lo, s3
	ds_read_u16 v22, v12
	ds_read_b64 v[6:7], v14
	s_add_i32 s18, s18, s7
	s_waitcnt lgkmcnt(0)
	s_waitcnt_vscnt null, 0x0
	s_cmp_ge_i32 s18, s9
	s_barrier
	buffer_gl0_inv
	s_cbranch_scc1 .LBB16_2
.LBB16_6:                               ;   Parent Loop BB16_3 Depth=1
                                        ; =>  This Loop Header: Depth=2
                                        ;       Child Loop BB16_21 Depth 3
	v_add_nc_u32_e32 v4, s18, v0
	v_add_nc_u32_e32 v2, s10, v4
	s_and_saveexec_b32 s19, vcc_lo
	s_cbranch_execz .LBB16_18
; %bb.7:                                ;   in Loop: Header=BB16_6 Depth=2
	v_cmp_le_i32_e64 s2, s9, v4
	s_and_saveexec_b32 s3, s2
	s_xor_b32 s2, exec_lo, s3
; %bb.8:                                ;   in Loop: Header=BB16_6 Depth=2
	v_mov_b32_e32 v3, s16
	ds_write_b16 v10, v3
; %bb.9:                                ;   in Loop: Header=BB16_6 Depth=2
	s_andn2_saveexec_b32 s3, s2
	s_cbranch_execz .LBB16_11
; %bb.10:                               ;   in Loop: Header=BB16_6 Depth=2
	v_ashrrev_i32_e32 v5, 31, v4
	v_lshlrev_b64 v[23:24], 1, v[4:5]
	v_add_co_u32 v23, s2, v16, v23
	v_add_co_ci_u32_e64 v24, null, v17, v24, s2
	global_load_ushort v3, v[23:24], off
	s_waitcnt vmcnt(0)
	ds_write_b16 v10, v3
	ds_write_b64 v11, v[4:5]
.LBB16_11:                              ;   in Loop: Header=BB16_6 Depth=2
	s_or_b32 exec_lo, exec_lo, s3
	v_cmp_le_i32_e64 s2, s9, v2
	s_and_saveexec_b32 s3, s2
	s_xor_b32 s2, exec_lo, s3
	s_cbranch_execnz .LBB16_14
; %bb.12:                               ;   in Loop: Header=BB16_6 Depth=2
	s_andn2_saveexec_b32 s3, s2
	s_cbranch_execnz .LBB16_15
.LBB16_13:                              ;   in Loop: Header=BB16_6 Depth=2
	s_or_b32 exec_lo, exec_lo, s3
	s_and_b32 exec_lo, exec_lo, s0
	s_cbranch_execnz .LBB16_16
	s_branch .LBB16_18
.LBB16_14:                              ;   in Loop: Header=BB16_6 Depth=2
	v_mov_b32_e32 v3, s16
	ds_write_b16 v13, v3
	s_andn2_saveexec_b32 s3, s2
	s_cbranch_execz .LBB16_13
.LBB16_15:                              ;   in Loop: Header=BB16_6 Depth=2
	v_ashrrev_i32_e32 v3, 31, v2
	v_lshlrev_b64 v[23:24], 1, v[2:3]
	v_add_co_u32 v23, s2, v16, v23
	v_add_co_ci_u32_e64 v24, null, v17, v24, s2
	global_load_ushort v5, v[23:24], off
	s_waitcnt vmcnt(0)
	ds_write_b16 v13, v5
	ds_write_b64 v15, v[2:3]
	s_or_b32 exec_lo, exec_lo, s3
	s_and_b32 exec_lo, exec_lo, s0
	s_cbranch_execz .LBB16_18
.LBB16_16:                              ;   in Loop: Header=BB16_6 Depth=2
	ds_read_u16 v3, v8
	s_waitcnt lgkmcnt(0)
	v_cmp_o_f16_e64 s2, v3, v3
	v_cmp_nge_f16_e64 s3, v3, v22
	s_and_b32 s2, s2, s3
	s_and_b32 exec_lo, exec_lo, s2
	s_cbranch_execz .LBB16_18
; %bb.17:                               ;   in Loop: Header=BB16_6 Depth=2
	ds_write_b16 v8, v22
	ds_write_b64 v9, v[6:7]
.LBB16_18:                              ;   in Loop: Header=BB16_6 Depth=2
	s_or_b32 exec_lo, exec_lo, s19
	v_mov_b32_e32 v3, 1
	s_mov_b32 s19, 0
	s_waitcnt lgkmcnt(0)
	s_barrier
	buffer_gl0_inv
	s_branch .LBB16_21
.LBB16_19:                              ;   in Loop: Header=BB16_21 Depth=3
	s_or_b32 exec_lo, exec_lo, s2
	v_mov_b32_e32 v3, v5
.LBB16_20:                              ;   in Loop: Header=BB16_21 Depth=3
	s_or_b32 exec_lo, exec_lo, s20
	v_cmp_lt_u32_e64 s2, s10, v3
	s_waitcnt lgkmcnt(0)
	s_barrier
	buffer_gl0_inv
	s_or_b32 s19, s2, s19
	s_andn2_b32 exec_lo, exec_lo, s19
	s_cbranch_execz .LBB16_26
.LBB16_21:                              ;   Parent Loop BB16_3 Depth=1
                                        ;     Parent Loop BB16_6 Depth=2
                                        ; =>    This Inner Loop Header: Depth=3
	v_lshlrev_b32_e32 v5, 1, v3
	s_and_saveexec_b32 s2, s1
	s_xor_b32 s2, exec_lo, s2
; %bb.22:                               ;   in Loop: Header=BB16_21 Depth=3
	v_lshlrev_b32_e32 v3, 1, v3
                                        ; implicit-def: $vgpr5
; %bb.23:                               ;   in Loop: Header=BB16_21 Depth=3
	s_andn2_saveexec_b32 s20, s2
	s_cbranch_execz .LBB16_20
; %bb.24:                               ;   in Loop: Header=BB16_21 Depth=3
	v_ffbl_b32_e32 v6, v3
	v_add_nc_u32_e32 v22, -1, v3
	v_lshrrev_b32_e32 v6, v6, v0
	v_mad_u64_u32 v[6:7], null, v5, v6, v[3:4]
	v_and_b32_e32 v3, v22, v0
	v_add_nc_u32_e32 v3, v6, v3
	v_add_nc_u32_e32 v6, -1, v6
	v_lshl_add_u32 v7, v3, 1, v8
	v_lshl_add_u32 v22, v6, 1, v8
	ds_read_u16 v23, v7
	ds_read_u16 v22, v22
	s_waitcnt lgkmcnt(1)
	v_cmp_o_f16_e64 s2, v23, v23
	s_waitcnt lgkmcnt(0)
	v_cmp_nge_f16_e64 s3, v23, v22
	s_and_b32 s3, s2, s3
	s_and_saveexec_b32 s2, s3
	s_cbranch_execz .LBB16_19
; %bb.25:                               ;   in Loop: Header=BB16_21 Depth=3
	v_lshl_add_u32 v6, v6, 3, v9
	v_lshl_add_u32 v3, v3, 3, v9
	ds_read_b64 v[23:24], v6
	ds_write_b16 v7, v22
	s_waitcnt lgkmcnt(1)
	ds_write_b64 v3, v[23:24]
	s_branch .LBB16_19
.LBB16_26:                              ;   in Loop: Header=BB16_6 Depth=2
	s_or_b32 exec_lo, exec_lo, s19
	s_and_saveexec_b32 s3, vcc_lo
	s_cbranch_execz .LBB16_5
; %bb.27:                               ;   in Loop: Header=BB16_6 Depth=2
	s_mov_b32 s19, exec_lo
	v_cmpx_gt_i32_e64 s9, v4
	s_cbranch_execz .LBB16_29
; %bb.28:                               ;   in Loop: Header=BB16_6 Depth=2
	ds_read_u16 v24, v10
	ds_read_b64 v[6:7], v11
	v_ashrrev_i32_e32 v5, 31, v4
	v_lshlrev_b64 v[22:23], 1, v[4:5]
	v_lshlrev_b64 v[3:4], 3, v[4:5]
	v_add_co_u32 v22, s2, v18, v22
	v_add_co_ci_u32_e64 v23, null, v19, v23, s2
	v_add_co_u32 v3, s2, v20, v3
	v_add_co_ci_u32_e64 v4, null, v21, v4, s2
	s_waitcnt lgkmcnt(1)
	global_store_short v[22:23], v24, off
	s_waitcnt lgkmcnt(0)
	global_store_dwordx2 v[3:4], v[6:7], off
.LBB16_29:                              ;   in Loop: Header=BB16_6 Depth=2
	s_or_b32 exec_lo, exec_lo, s19
	v_cmp_gt_i32_e64 s2, s9, v2
	s_and_b32 exec_lo, exec_lo, s2
	s_cbranch_execz .LBB16_5
; %bb.30:                               ;   in Loop: Header=BB16_6 Depth=2
	ds_read_u16 v22, v13
	ds_read_b64 v[4:5], v15
	v_ashrrev_i32_e32 v3, 31, v2
	v_lshlrev_b64 v[6:7], 1, v[2:3]
	v_lshlrev_b64 v[2:3], 3, v[2:3]
	v_add_co_u32 v6, s2, v18, v6
	v_add_co_ci_u32_e64 v7, null, v19, v7, s2
	v_add_co_u32 v2, s2, v20, v2
	v_add_co_ci_u32_e64 v3, null, v21, v3, s2
	s_waitcnt lgkmcnt(1)
	global_store_short v[6:7], v22, off
	s_waitcnt lgkmcnt(0)
	global_store_dwordx2 v[2:3], v[4:5], off
	s_branch .LBB16_5
.LBB16_31:
	s_endpgm
	.section	.rodata,"a",@progbits
	.p2align	6, 0x0
	.amdhsa_kernel _ZN2at6native45tensor_kernel_scan_innermost_dim_with_indicesIN3c104HalfESt13greater_equalIS3_EEEvPKT_PS6_PliijjS6_T0_
		.amdhsa_group_segment_fixed_size 0
		.amdhsa_private_segment_fixed_size 0
		.amdhsa_kernarg_size 304
		.amdhsa_user_sgpr_count 6
		.amdhsa_user_sgpr_private_segment_buffer 1
		.amdhsa_user_sgpr_dispatch_ptr 0
		.amdhsa_user_sgpr_queue_ptr 0
		.amdhsa_user_sgpr_kernarg_segment_ptr 1
		.amdhsa_user_sgpr_dispatch_id 0
		.amdhsa_user_sgpr_flat_scratch_init 0
		.amdhsa_user_sgpr_private_segment_size 0
		.amdhsa_wavefront_size32 1
		.amdhsa_uses_dynamic_stack 0
		.amdhsa_system_sgpr_private_segment_wavefront_offset 0
		.amdhsa_system_sgpr_workgroup_id_x 1
		.amdhsa_system_sgpr_workgroup_id_y 0
		.amdhsa_system_sgpr_workgroup_id_z 0
		.amdhsa_system_sgpr_workgroup_info 0
		.amdhsa_system_vgpr_workitem_id 1
		.amdhsa_next_free_vgpr 25
		.amdhsa_next_free_sgpr 21
		.amdhsa_reserve_vcc 1
		.amdhsa_reserve_flat_scratch 0
		.amdhsa_float_round_mode_32 0
		.amdhsa_float_round_mode_16_64 0
		.amdhsa_float_denorm_mode_32 3
		.amdhsa_float_denorm_mode_16_64 3
		.amdhsa_dx10_clamp 1
		.amdhsa_ieee_mode 1
		.amdhsa_fp16_overflow 0
		.amdhsa_workgroup_processor_mode 1
		.amdhsa_memory_ordered 1
		.amdhsa_forward_progress 1
		.amdhsa_shared_vgpr_count 0
		.amdhsa_exception_fp_ieee_invalid_op 0
		.amdhsa_exception_fp_denorm_src 0
		.amdhsa_exception_fp_ieee_div_zero 0
		.amdhsa_exception_fp_ieee_overflow 0
		.amdhsa_exception_fp_ieee_underflow 0
		.amdhsa_exception_fp_ieee_inexact 0
		.amdhsa_exception_int_div_zero 0
	.end_amdhsa_kernel
	.section	.text._ZN2at6native45tensor_kernel_scan_innermost_dim_with_indicesIN3c104HalfESt13greater_equalIS3_EEEvPKT_PS6_PliijjS6_T0_,"axG",@progbits,_ZN2at6native45tensor_kernel_scan_innermost_dim_with_indicesIN3c104HalfESt13greater_equalIS3_EEEvPKT_PS6_PliijjS6_T0_,comdat
.Lfunc_end16:
	.size	_ZN2at6native45tensor_kernel_scan_innermost_dim_with_indicesIN3c104HalfESt13greater_equalIS3_EEEvPKT_PS6_PliijjS6_T0_, .Lfunc_end16-_ZN2at6native45tensor_kernel_scan_innermost_dim_with_indicesIN3c104HalfESt13greater_equalIS3_EEEvPKT_PS6_PliijjS6_T0_
                                        ; -- End function
	.set _ZN2at6native45tensor_kernel_scan_innermost_dim_with_indicesIN3c104HalfESt13greater_equalIS3_EEEvPKT_PS6_PliijjS6_T0_.num_vgpr, 25
	.set _ZN2at6native45tensor_kernel_scan_innermost_dim_with_indicesIN3c104HalfESt13greater_equalIS3_EEEvPKT_PS6_PliijjS6_T0_.num_agpr, 0
	.set _ZN2at6native45tensor_kernel_scan_innermost_dim_with_indicesIN3c104HalfESt13greater_equalIS3_EEEvPKT_PS6_PliijjS6_T0_.numbered_sgpr, 21
	.set _ZN2at6native45tensor_kernel_scan_innermost_dim_with_indicesIN3c104HalfESt13greater_equalIS3_EEEvPKT_PS6_PliijjS6_T0_.num_named_barrier, 0
	.set _ZN2at6native45tensor_kernel_scan_innermost_dim_with_indicesIN3c104HalfESt13greater_equalIS3_EEEvPKT_PS6_PliijjS6_T0_.private_seg_size, 0
	.set _ZN2at6native45tensor_kernel_scan_innermost_dim_with_indicesIN3c104HalfESt13greater_equalIS3_EEEvPKT_PS6_PliijjS6_T0_.uses_vcc, 1
	.set _ZN2at6native45tensor_kernel_scan_innermost_dim_with_indicesIN3c104HalfESt13greater_equalIS3_EEEvPKT_PS6_PliijjS6_T0_.uses_flat_scratch, 0
	.set _ZN2at6native45tensor_kernel_scan_innermost_dim_with_indicesIN3c104HalfESt13greater_equalIS3_EEEvPKT_PS6_PliijjS6_T0_.has_dyn_sized_stack, 0
	.set _ZN2at6native45tensor_kernel_scan_innermost_dim_with_indicesIN3c104HalfESt13greater_equalIS3_EEEvPKT_PS6_PliijjS6_T0_.has_recursion, 0
	.set _ZN2at6native45tensor_kernel_scan_innermost_dim_with_indicesIN3c104HalfESt13greater_equalIS3_EEEvPKT_PS6_PliijjS6_T0_.has_indirect_call, 0
	.section	.AMDGPU.csdata,"",@progbits
; Kernel info:
; codeLenInByte = 1180
; TotalNumSgprs: 23
; NumVgprs: 25
; ScratchSize: 0
; MemoryBound: 0
; FloatMode: 240
; IeeeMode: 1
; LDSByteSize: 0 bytes/workgroup (compile time only)
; SGPRBlocks: 0
; VGPRBlocks: 3
; NumSGPRsForWavesPerEU: 23
; NumVGPRsForWavesPerEU: 25
; Occupancy: 16
; WaveLimiterHint : 0
; COMPUTE_PGM_RSRC2:SCRATCH_EN: 0
; COMPUTE_PGM_RSRC2:USER_SGPR: 6
; COMPUTE_PGM_RSRC2:TRAP_HANDLER: 0
; COMPUTE_PGM_RSRC2:TGID_X_EN: 1
; COMPUTE_PGM_RSRC2:TGID_Y_EN: 0
; COMPUTE_PGM_RSRC2:TGID_Z_EN: 0
; COMPUTE_PGM_RSRC2:TIDIG_COMP_CNT: 1
	.section	.text._ZN2at6native41tensor_kernel_scan_outer_dim_with_indicesIN3c104HalfESt13greater_equalIS3_EEEvPKT_PS6_PljjjS6_T0_,"axG",@progbits,_ZN2at6native41tensor_kernel_scan_outer_dim_with_indicesIN3c104HalfESt13greater_equalIS3_EEEvPKT_PS6_PljjjS6_T0_,comdat
	.protected	_ZN2at6native41tensor_kernel_scan_outer_dim_with_indicesIN3c104HalfESt13greater_equalIS3_EEEvPKT_PS6_PljjjS6_T0_ ; -- Begin function _ZN2at6native41tensor_kernel_scan_outer_dim_with_indicesIN3c104HalfESt13greater_equalIS3_EEEvPKT_PS6_PljjjS6_T0_
	.globl	_ZN2at6native41tensor_kernel_scan_outer_dim_with_indicesIN3c104HalfESt13greater_equalIS3_EEEvPKT_PS6_PljjjS6_T0_
	.p2align	8
	.type	_ZN2at6native41tensor_kernel_scan_outer_dim_with_indicesIN3c104HalfESt13greater_equalIS3_EEEvPKT_PS6_PljjjS6_T0_,@function
_ZN2at6native41tensor_kernel_scan_outer_dim_with_indicesIN3c104HalfESt13greater_equalIS3_EEEvPKT_PS6_PljjjS6_T0_: ; @_ZN2at6native41tensor_kernel_scan_outer_dim_with_indicesIN3c104HalfESt13greater_equalIS3_EEEvPKT_PS6_PljjjS6_T0_
; %bb.0:
	s_load_dwordx4 s[8:11], s[4:5], 0x18
	s_waitcnt lgkmcnt(0)
	s_cmp_ge_u32 s6, s8
	s_cbranch_scc1 .LBB17_9
; %bb.1:
	s_clause 0x3
	s_load_dword s0, s[4:5], 0x34
	s_load_dword s26, s[4:5], 0x28
	s_load_dwordx4 s[12:15], s[4:5], 0x0
	s_load_dwordx2 s[2:3], s[4:5], 0x10
	s_add_u32 s4, s4, 40
	s_addc_u32 s5, s5, 0
	s_mul_i32 s1, s6, s10
	v_mov_b32_e32 v2, 0
	s_mov_b32 s17, 0
	s_mov_b32 s16, s9
	s_mul_i32 s1, s1, s9
	s_waitcnt lgkmcnt(0)
	s_and_b32 s27, s0, 0xffff
	s_cmp_lg_u32 s10, 0
	v_mad_u64_u32 v[0:1], null, s7, s27, v[0:1]
	s_mul_i32 s7, s26, s10
	s_cselect_b32 s28, -1, 0
	s_mul_i32 s7, s7, s9
	s_lshl_b64 s[18:19], s[16:17], 3
	s_lshl_b64 s[20:21], s[16:17], 1
	s_mov_b32 s16, s1
	v_cmp_gt_u32_e64 s0, s9, v0
	s_branch .LBB17_3
.LBB17_2:                               ;   in Loop: Header=BB17_3 Depth=1
	s_or_b32 exec_lo, exec_lo, s29
	s_add_i32 s6, s26, s6
	s_add_i32 s16, s16, s7
	s_cmp_ge_u32 s6, s8
	s_cbranch_scc1 .LBB17_9
.LBB17_3:                               ; =>This Loop Header: Depth=1
                                        ;     Child Loop BB17_6 Depth 2
                                        ;       Child Loop BB17_8 Depth 3
	s_and_saveexec_b32 s29, s0
	s_cbranch_execz .LBB17_2
; %bb.4:                                ;   in Loop: Header=BB17_3 Depth=1
	s_load_dword s33, s[4:5], 0x4
	s_lshl_b64 s[24:25], s[16:17], 3
	v_mov_b32_e32 v1, v0
	s_lshl_b64 s[22:23], s[16:17], 1
	s_add_u32 s30, s2, s24
	s_addc_u32 s31, s3, s25
	s_mov_b32 s34, 0
	s_waitcnt lgkmcnt(0)
	s_mul_i32 s33, s33, s27
	s_branch .LBB17_6
.LBB17_5:                               ;   in Loop: Header=BB17_6 Depth=2
	s_inst_prefetch 0x2
	v_add_nc_u32_e32 v1, s33, v1
	v_cmp_le_u32_e32 vcc_lo, s9, v1
	s_or_b32 s34, vcc_lo, s34
	s_andn2_b32 exec_lo, exec_lo, s34
	s_cbranch_execz .LBB17_2
.LBB17_6:                               ;   Parent Loop BB17_3 Depth=1
                                        ; =>  This Loop Header: Depth=2
                                        ;       Child Loop BB17_8 Depth 3
	s_andn2_b32 vcc_lo, exec_lo, s28
	s_cbranch_vccnz .LBB17_5
; %bb.7:                                ;   in Loop: Header=BB17_6 Depth=2
	v_lshlrev_b64 v[3:4], 3, v[1:2]
	v_lshlrev_b64 v[5:6], 1, v[1:2]
	v_mov_b32_e32 v9, s11
	s_mov_b64 s[24:25], 0
	v_add_co_u32 v3, vcc_lo, s30, v3
	v_add_co_ci_u32_e64 v4, null, s31, v4, vcc_lo
	v_add_co_u32 v7, vcc_lo, s22, v5
	v_add_co_ci_u32_e64 v8, null, s23, v6, vcc_lo
	v_mov_b32_e32 v5, 0
	v_mov_b32_e32 v6, 0
	s_inst_prefetch 0x1
	.p2align	6
.LBB17_8:                               ;   Parent Loop BB17_3 Depth=1
                                        ;     Parent Loop BB17_6 Depth=2
                                        ; =>    This Inner Loop Header: Depth=3
	v_add_co_u32 v10, vcc_lo, s12, v7
	v_add_co_ci_u32_e64 v11, null, s13, v8, vcc_lo
	global_load_ushort v12, v[10:11], off
	v_add_co_u32 v10, vcc_lo, s14, v7
	v_add_co_ci_u32_e64 v11, null, s15, v8, vcc_lo
	v_add_co_u32 v7, vcc_lo, v7, s20
	v_add_co_ci_u32_e64 v8, null, s21, v8, vcc_lo
	s_waitcnt vmcnt(0)
	v_cmp_o_f16_e32 vcc_lo, v12, v12
	v_cmp_nge_f16_e64 s1, v12, v9
	s_and_b32 vcc_lo, vcc_lo, s1
	v_cndmask_b32_e32 v6, s25, v6, vcc_lo
	v_cndmask_b32_e32 v5, s24, v5, vcc_lo
	;; [unrolled: 1-line block ×3, first 2 shown]
	s_add_u32 s24, s24, 1
	s_addc_u32 s25, s25, 0
	s_cmp_eq_u32 s10, s24
	global_store_dwordx2 v[3:4], v[5:6], off
	v_add_co_u32 v3, vcc_lo, v3, s18
	v_add_co_ci_u32_e64 v4, null, s19, v4, vcc_lo
	global_store_short v[10:11], v9, off
	s_cbranch_scc0 .LBB17_8
	s_branch .LBB17_5
.LBB17_9:
	s_endpgm
	.section	.rodata,"a",@progbits
	.p2align	6, 0x0
	.amdhsa_kernel _ZN2at6native41tensor_kernel_scan_outer_dim_with_indicesIN3c104HalfESt13greater_equalIS3_EEEvPKT_PS6_PljjjS6_T0_
		.amdhsa_group_segment_fixed_size 0
		.amdhsa_private_segment_fixed_size 0
		.amdhsa_kernarg_size 296
		.amdhsa_user_sgpr_count 6
		.amdhsa_user_sgpr_private_segment_buffer 1
		.amdhsa_user_sgpr_dispatch_ptr 0
		.amdhsa_user_sgpr_queue_ptr 0
		.amdhsa_user_sgpr_kernarg_segment_ptr 1
		.amdhsa_user_sgpr_dispatch_id 0
		.amdhsa_user_sgpr_flat_scratch_init 0
		.amdhsa_user_sgpr_private_segment_size 0
		.amdhsa_wavefront_size32 1
		.amdhsa_uses_dynamic_stack 0
		.amdhsa_system_sgpr_private_segment_wavefront_offset 0
		.amdhsa_system_sgpr_workgroup_id_x 1
		.amdhsa_system_sgpr_workgroup_id_y 1
		.amdhsa_system_sgpr_workgroup_id_z 0
		.amdhsa_system_sgpr_workgroup_info 0
		.amdhsa_system_vgpr_workitem_id 0
		.amdhsa_next_free_vgpr 13
		.amdhsa_next_free_sgpr 35
		.amdhsa_reserve_vcc 1
		.amdhsa_reserve_flat_scratch 0
		.amdhsa_float_round_mode_32 0
		.amdhsa_float_round_mode_16_64 0
		.amdhsa_float_denorm_mode_32 3
		.amdhsa_float_denorm_mode_16_64 3
		.amdhsa_dx10_clamp 1
		.amdhsa_ieee_mode 1
		.amdhsa_fp16_overflow 0
		.amdhsa_workgroup_processor_mode 1
		.amdhsa_memory_ordered 1
		.amdhsa_forward_progress 1
		.amdhsa_shared_vgpr_count 0
		.amdhsa_exception_fp_ieee_invalid_op 0
		.amdhsa_exception_fp_denorm_src 0
		.amdhsa_exception_fp_ieee_div_zero 0
		.amdhsa_exception_fp_ieee_overflow 0
		.amdhsa_exception_fp_ieee_underflow 0
		.amdhsa_exception_fp_ieee_inexact 0
		.amdhsa_exception_int_div_zero 0
	.end_amdhsa_kernel
	.section	.text._ZN2at6native41tensor_kernel_scan_outer_dim_with_indicesIN3c104HalfESt13greater_equalIS3_EEEvPKT_PS6_PljjjS6_T0_,"axG",@progbits,_ZN2at6native41tensor_kernel_scan_outer_dim_with_indicesIN3c104HalfESt13greater_equalIS3_EEEvPKT_PS6_PljjjS6_T0_,comdat
.Lfunc_end17:
	.size	_ZN2at6native41tensor_kernel_scan_outer_dim_with_indicesIN3c104HalfESt13greater_equalIS3_EEEvPKT_PS6_PljjjS6_T0_, .Lfunc_end17-_ZN2at6native41tensor_kernel_scan_outer_dim_with_indicesIN3c104HalfESt13greater_equalIS3_EEEvPKT_PS6_PljjjS6_T0_
                                        ; -- End function
	.set _ZN2at6native41tensor_kernel_scan_outer_dim_with_indicesIN3c104HalfESt13greater_equalIS3_EEEvPKT_PS6_PljjjS6_T0_.num_vgpr, 13
	.set _ZN2at6native41tensor_kernel_scan_outer_dim_with_indicesIN3c104HalfESt13greater_equalIS3_EEEvPKT_PS6_PljjjS6_T0_.num_agpr, 0
	.set _ZN2at6native41tensor_kernel_scan_outer_dim_with_indicesIN3c104HalfESt13greater_equalIS3_EEEvPKT_PS6_PljjjS6_T0_.numbered_sgpr, 35
	.set _ZN2at6native41tensor_kernel_scan_outer_dim_with_indicesIN3c104HalfESt13greater_equalIS3_EEEvPKT_PS6_PljjjS6_T0_.num_named_barrier, 0
	.set _ZN2at6native41tensor_kernel_scan_outer_dim_with_indicesIN3c104HalfESt13greater_equalIS3_EEEvPKT_PS6_PljjjS6_T0_.private_seg_size, 0
	.set _ZN2at6native41tensor_kernel_scan_outer_dim_with_indicesIN3c104HalfESt13greater_equalIS3_EEEvPKT_PS6_PljjjS6_T0_.uses_vcc, 1
	.set _ZN2at6native41tensor_kernel_scan_outer_dim_with_indicesIN3c104HalfESt13greater_equalIS3_EEEvPKT_PS6_PljjjS6_T0_.uses_flat_scratch, 0
	.set _ZN2at6native41tensor_kernel_scan_outer_dim_with_indicesIN3c104HalfESt13greater_equalIS3_EEEvPKT_PS6_PljjjS6_T0_.has_dyn_sized_stack, 0
	.set _ZN2at6native41tensor_kernel_scan_outer_dim_with_indicesIN3c104HalfESt13greater_equalIS3_EEEvPKT_PS6_PljjjS6_T0_.has_recursion, 0
	.set _ZN2at6native41tensor_kernel_scan_outer_dim_with_indicesIN3c104HalfESt13greater_equalIS3_EEEvPKT_PS6_PljjjS6_T0_.has_indirect_call, 0
	.section	.AMDGPU.csdata,"",@progbits
; Kernel info:
; codeLenInByte = 464
; TotalNumSgprs: 37
; NumVgprs: 13
; ScratchSize: 0
; MemoryBound: 0
; FloatMode: 240
; IeeeMode: 1
; LDSByteSize: 0 bytes/workgroup (compile time only)
; SGPRBlocks: 0
; VGPRBlocks: 1
; NumSGPRsForWavesPerEU: 37
; NumVGPRsForWavesPerEU: 13
; Occupancy: 16
; WaveLimiterHint : 0
; COMPUTE_PGM_RSRC2:SCRATCH_EN: 0
; COMPUTE_PGM_RSRC2:USER_SGPR: 6
; COMPUTE_PGM_RSRC2:TRAP_HANDLER: 0
; COMPUTE_PGM_RSRC2:TGID_X_EN: 1
; COMPUTE_PGM_RSRC2:TGID_Y_EN: 1
; COMPUTE_PGM_RSRC2:TGID_Z_EN: 0
; COMPUTE_PGM_RSRC2:TIDIG_COMP_CNT: 0
	.section	.text._ZN2at6native45tensor_kernel_scan_innermost_dim_with_indicesIN3c108BFloat16ESt13greater_equalIS3_EEEvPKT_PS6_PliijjS6_T0_,"axG",@progbits,_ZN2at6native45tensor_kernel_scan_innermost_dim_with_indicesIN3c108BFloat16ESt13greater_equalIS3_EEEvPKT_PS6_PliijjS6_T0_,comdat
	.protected	_ZN2at6native45tensor_kernel_scan_innermost_dim_with_indicesIN3c108BFloat16ESt13greater_equalIS3_EEEvPKT_PS6_PliijjS6_T0_ ; -- Begin function _ZN2at6native45tensor_kernel_scan_innermost_dim_with_indicesIN3c108BFloat16ESt13greater_equalIS3_EEEvPKT_PS6_PliijjS6_T0_
	.globl	_ZN2at6native45tensor_kernel_scan_innermost_dim_with_indicesIN3c108BFloat16ESt13greater_equalIS3_EEEvPKT_PS6_PliijjS6_T0_
	.p2align	8
	.type	_ZN2at6native45tensor_kernel_scan_innermost_dim_with_indicesIN3c108BFloat16ESt13greater_equalIS3_EEEvPKT_PS6_PliijjS6_T0_,@function
_ZN2at6native45tensor_kernel_scan_innermost_dim_with_indicesIN3c108BFloat16ESt13greater_equalIS3_EEEvPKT_PS6_PliijjS6_T0_: ; @_ZN2at6native45tensor_kernel_scan_innermost_dim_with_indicesIN3c108BFloat16ESt13greater_equalIS3_EEEvPKT_PS6_PliijjS6_T0_
; %bb.0:
	s_clause 0x1
	s_load_dword s2, s[4:5], 0x3c
	s_load_dwordx4 s[8:11], s[4:5], 0x18
	s_add_u32 s0, s4, 48
	s_addc_u32 s1, s5, 0
	s_waitcnt lgkmcnt(0)
	s_lshr_b32 s2, s2, 16
	s_mul_i32 s3, s6, s2
	s_cmp_ge_i32 s3, s8
	s_cbranch_scc1 .LBB18_33
; %bb.1:
	s_lshl_b32 s6, 2, s11
	s_clause 0x2
	s_load_dword s7, s[4:5], 0x28
	s_load_dwordx4 s[12:15], s[4:5], 0x0
	s_load_dwordx2 s[4:5], s[4:5], 0x10
	s_load_dword s16, s[0:1], 0x0
	v_mul_lo_u32 v2, s6, v1
	s_lshl_b32 s0, s10, 2
	s_lshl_b32 s10, 1, s11
	s_cmp_gt_i32 s9, 0
	s_cselect_b32 s11, -1, 0
	s_add_i32 s1, s6, -1
	v_lshlrev_b32_e32 v3, 3, v2
	v_lshl_add_u32 v8, v2, 1, 0
	v_add3_u32 v9, 0, s0, v3
	v_lshl_add_u32 v10, v0, 1, v8
	v_cmp_eq_u32_e64 s0, 0, v0
	v_lshl_add_u32 v12, s1, 1, v8
	v_lshl_add_u32 v11, v0, 3, v9
	;; [unrolled: 1-line block ×4, first 2 shown]
	s_waitcnt lgkmcnt(0)
	s_mul_i32 s16, s16, s2
	v_lshl_add_u32 v15, s10, 3, v11
	s_branch .LBB18_3
.LBB18_2:                               ;   in Loop: Header=BB18_3 Depth=1
	s_add_i32 s3, s16, s3
	s_cmp_ge_i32 s3, s8
	s_cbranch_scc1 .LBB18_33
.LBB18_3:                               ; =>This Loop Header: Depth=1
                                        ;     Child Loop BB18_6 Depth 2
                                        ;       Child Loop BB18_22 Depth 3
	s_andn2_b32 vcc_lo, exec_lo, s11
	s_cbranch_vccnz .LBB18_2
; %bb.4:                                ;   in Loop: Header=BB18_3 Depth=1
	v_add_nc_u32_e32 v16, s3, v1
	v_mov_b32_e32 v6, 0
	v_mov_b32_e32 v7, 0
	;; [unrolled: 1-line block ×3, first 2 shown]
	s_mov_b32 s17, 0
	v_mul_lo_u32 v2, v16, s9
	v_cmp_gt_i32_e32 vcc_lo, s8, v16
	v_cmp_le_i32_e64 s1, s8, v16
	v_ashrrev_i32_e32 v3, 31, v2
	v_lshlrev_b64 v[4:5], 1, v[2:3]
	v_lshlrev_b64 v[2:3], 3, v[2:3]
	v_add_co_u32 v16, s2, s12, v4
	v_add_co_ci_u32_e64 v17, null, s13, v5, s2
	v_add_co_u32 v18, s2, s14, v4
	v_add_co_ci_u32_e64 v19, null, s15, v5, s2
	v_add_co_u32 v20, s2, s4, v2
	v_add_co_ci_u32_e64 v21, null, s5, v3, s2
	s_branch .LBB18_6
.LBB18_5:                               ;   in Loop: Header=BB18_6 Depth=2
	s_or_b32 exec_lo, exec_lo, s18
	ds_read_u16 v22, v12
	ds_read_b64 v[6:7], v14
	s_add_i32 s17, s17, s6
	s_waitcnt lgkmcnt(0)
	s_waitcnt_vscnt null, 0x0
	s_cmp_ge_i32 s17, s9
	s_barrier
	buffer_gl0_inv
	s_cbranch_scc1 .LBB18_2
.LBB18_6:                               ;   Parent Loop BB18_3 Depth=1
                                        ; =>  This Loop Header: Depth=2
                                        ;       Child Loop BB18_22 Depth 3
	v_add_nc_u32_e32 v4, s17, v0
	v_add_nc_u32_e32 v2, s10, v4
	s_and_saveexec_b32 s18, vcc_lo
	s_cbranch_execz .LBB18_19
; %bb.7:                                ;   in Loop: Header=BB18_6 Depth=2
	v_cmp_le_i32_e64 s2, s9, v4
	s_and_saveexec_b32 s19, s2
	s_xor_b32 s2, exec_lo, s19
; %bb.8:                                ;   in Loop: Header=BB18_6 Depth=2
	v_mov_b32_e32 v3, s7
	ds_write_b16 v10, v3
; %bb.9:                                ;   in Loop: Header=BB18_6 Depth=2
	s_andn2_saveexec_b32 s19, s2
	s_cbranch_execz .LBB18_11
; %bb.10:                               ;   in Loop: Header=BB18_6 Depth=2
	v_ashrrev_i32_e32 v5, 31, v4
	v_lshlrev_b64 v[23:24], 1, v[4:5]
	v_add_co_u32 v23, s2, v16, v23
	v_add_co_ci_u32_e64 v24, null, v17, v24, s2
	global_load_ushort v3, v[23:24], off
	s_waitcnt vmcnt(0)
	ds_write_b16 v10, v3
	ds_write_b64 v11, v[4:5]
.LBB18_11:                              ;   in Loop: Header=BB18_6 Depth=2
	s_or_b32 exec_lo, exec_lo, s19
	v_cmp_le_i32_e64 s2, s9, v2
	s_and_saveexec_b32 s19, s2
	s_xor_b32 s2, exec_lo, s19
	s_cbranch_execnz .LBB18_14
; %bb.12:                               ;   in Loop: Header=BB18_6 Depth=2
	s_andn2_saveexec_b32 s19, s2
	s_cbranch_execnz .LBB18_15
.LBB18_13:                              ;   in Loop: Header=BB18_6 Depth=2
	s_or_b32 exec_lo, exec_lo, s19
	s_and_b32 exec_lo, exec_lo, s0
	s_cbranch_execnz .LBB18_16
	s_branch .LBB18_19
.LBB18_14:                              ;   in Loop: Header=BB18_6 Depth=2
	v_mov_b32_e32 v3, s7
	ds_write_b16 v13, v3
	s_andn2_saveexec_b32 s19, s2
	s_cbranch_execz .LBB18_13
.LBB18_15:                              ;   in Loop: Header=BB18_6 Depth=2
	v_ashrrev_i32_e32 v3, 31, v2
	v_lshlrev_b64 v[23:24], 1, v[2:3]
	v_add_co_u32 v23, s2, v16, v23
	v_add_co_ci_u32_e64 v24, null, v17, v24, s2
	global_load_ushort v5, v[23:24], off
	s_waitcnt vmcnt(0)
	ds_write_b16 v13, v5
	ds_write_b64 v15, v[2:3]
	s_or_b32 exec_lo, exec_lo, s19
	s_and_b32 exec_lo, exec_lo, s0
	s_cbranch_execz .LBB18_19
.LBB18_16:                              ;   in Loop: Header=BB18_6 Depth=2
	ds_read_u16 v3, v8
	s_waitcnt lgkmcnt(0)
	v_lshlrev_b32_e32 v3, 16, v3
	v_cmp_o_f32_e64 s2, v3, v3
	s_and_b32 exec_lo, exec_lo, s2
	s_cbranch_execz .LBB18_19
; %bb.17:                               ;   in Loop: Header=BB18_6 Depth=2
	v_lshlrev_b32_e32 v5, 16, v22
	v_cmp_nge_f32_e64 s2, v3, v5
	s_and_b32 exec_lo, exec_lo, s2
	s_cbranch_execz .LBB18_19
; %bb.18:                               ;   in Loop: Header=BB18_6 Depth=2
	ds_write_b16 v8, v22
	ds_write_b64 v9, v[6:7]
.LBB18_19:                              ;   in Loop: Header=BB18_6 Depth=2
	s_or_b32 exec_lo, exec_lo, s18
	v_mov_b32_e32 v3, 1
	s_mov_b32 s18, 0
	s_waitcnt lgkmcnt(0)
	s_barrier
	buffer_gl0_inv
	s_branch .LBB18_22
.LBB18_20:                              ;   in Loop: Header=BB18_22 Depth=3
	s_or_b32 exec_lo, exec_lo, s20
	v_mov_b32_e32 v3, v7
.LBB18_21:                              ;   in Loop: Header=BB18_22 Depth=3
	s_or_b32 exec_lo, exec_lo, s19
	v_cmp_lt_u32_e64 s2, s10, v3
	s_waitcnt lgkmcnt(0)
	s_barrier
	buffer_gl0_inv
	s_or_b32 s18, s2, s18
	s_andn2_b32 exec_lo, exec_lo, s18
	s_cbranch_execz .LBB18_28
.LBB18_22:                              ;   Parent Loop BB18_3 Depth=1
                                        ;     Parent Loop BB18_6 Depth=2
                                        ; =>    This Inner Loop Header: Depth=3
	v_lshlrev_b32_e32 v7, 1, v3
	s_and_saveexec_b32 s2, s1
	s_xor_b32 s2, exec_lo, s2
; %bb.23:                               ;   in Loop: Header=BB18_22 Depth=3
	v_lshlrev_b32_e32 v3, 1, v3
                                        ; implicit-def: $vgpr7
; %bb.24:                               ;   in Loop: Header=BB18_22 Depth=3
	s_andn2_saveexec_b32 s19, s2
	s_cbranch_execz .LBB18_21
; %bb.25:                               ;   in Loop: Header=BB18_22 Depth=3
	v_ffbl_b32_e32 v5, v3
	v_add_nc_u32_e32 v22, -1, v3
	s_mov_b32 s20, exec_lo
	v_lshrrev_b32_e32 v5, v5, v0
	v_mad_u64_u32 v[5:6], null, v7, v5, v[3:4]
	v_and_b32_e32 v3, v22, v0
	v_add_nc_u32_e32 v3, v5, v3
	v_lshl_add_u32 v6, v3, 1, v8
	ds_read_u16 v22, v6
	s_waitcnt lgkmcnt(0)
	v_lshlrev_b32_e32 v22, 16, v22
	v_cmpx_o_f32_e32 v22, v22
	s_cbranch_execz .LBB18_20
; %bb.26:                               ;   in Loop: Header=BB18_22 Depth=3
	v_add_nc_u32_e32 v23, -1, v5
	v_lshl_add_u32 v5, v23, 1, v8
	ds_read_u16 v5, v5
	s_waitcnt lgkmcnt(0)
	v_lshlrev_b32_e32 v24, 16, v5
	v_cmp_nge_f32_e64 s2, v22, v24
	s_and_b32 exec_lo, exec_lo, s2
	s_cbranch_execz .LBB18_20
; %bb.27:                               ;   in Loop: Header=BB18_22 Depth=3
	v_lshl_add_u32 v22, v23, 3, v9
	v_lshl_add_u32 v3, v3, 3, v9
	ds_read_b64 v[22:23], v22
	ds_write_b16 v6, v5
	s_waitcnt lgkmcnt(1)
	ds_write_b64 v3, v[22:23]
	s_branch .LBB18_20
.LBB18_28:                              ;   in Loop: Header=BB18_6 Depth=2
	s_or_b32 exec_lo, exec_lo, s18
	s_and_saveexec_b32 s18, vcc_lo
	s_cbranch_execz .LBB18_5
; %bb.29:                               ;   in Loop: Header=BB18_6 Depth=2
	s_mov_b32 s19, exec_lo
	v_cmpx_gt_i32_e64 s9, v4
	s_cbranch_execz .LBB18_31
; %bb.30:                               ;   in Loop: Header=BB18_6 Depth=2
	ds_read_u16 v24, v10
	ds_read_b64 v[6:7], v11
	v_ashrrev_i32_e32 v5, 31, v4
	v_lshlrev_b64 v[22:23], 1, v[4:5]
	v_lshlrev_b64 v[3:4], 3, v[4:5]
	v_add_co_u32 v22, s2, v18, v22
	v_add_co_ci_u32_e64 v23, null, v19, v23, s2
	v_add_co_u32 v3, s2, v20, v3
	v_add_co_ci_u32_e64 v4, null, v21, v4, s2
	s_waitcnt lgkmcnt(1)
	global_store_short v[22:23], v24, off
	s_waitcnt lgkmcnt(0)
	global_store_dwordx2 v[3:4], v[6:7], off
.LBB18_31:                              ;   in Loop: Header=BB18_6 Depth=2
	s_or_b32 exec_lo, exec_lo, s19
	v_cmp_gt_i32_e64 s2, s9, v2
	s_and_b32 exec_lo, exec_lo, s2
	s_cbranch_execz .LBB18_5
; %bb.32:                               ;   in Loop: Header=BB18_6 Depth=2
	ds_read_u16 v22, v13
	ds_read_b64 v[4:5], v15
	v_ashrrev_i32_e32 v3, 31, v2
	v_lshlrev_b64 v[6:7], 1, v[2:3]
	v_lshlrev_b64 v[2:3], 3, v[2:3]
	v_add_co_u32 v6, s2, v18, v6
	v_add_co_ci_u32_e64 v7, null, v19, v7, s2
	v_add_co_u32 v2, s2, v20, v2
	v_add_co_ci_u32_e64 v3, null, v21, v3, s2
	s_waitcnt lgkmcnt(1)
	global_store_short v[6:7], v22, off
	s_waitcnt lgkmcnt(0)
	global_store_dwordx2 v[2:3], v[4:5], off
	s_branch .LBB18_5
.LBB18_33:
	s_endpgm
	.section	.rodata,"a",@progbits
	.p2align	6, 0x0
	.amdhsa_kernel _ZN2at6native45tensor_kernel_scan_innermost_dim_with_indicesIN3c108BFloat16ESt13greater_equalIS3_EEEvPKT_PS6_PliijjS6_T0_
		.amdhsa_group_segment_fixed_size 0
		.amdhsa_private_segment_fixed_size 0
		.amdhsa_kernarg_size 304
		.amdhsa_user_sgpr_count 6
		.amdhsa_user_sgpr_private_segment_buffer 1
		.amdhsa_user_sgpr_dispatch_ptr 0
		.amdhsa_user_sgpr_queue_ptr 0
		.amdhsa_user_sgpr_kernarg_segment_ptr 1
		.amdhsa_user_sgpr_dispatch_id 0
		.amdhsa_user_sgpr_flat_scratch_init 0
		.amdhsa_user_sgpr_private_segment_size 0
		.amdhsa_wavefront_size32 1
		.amdhsa_uses_dynamic_stack 0
		.amdhsa_system_sgpr_private_segment_wavefront_offset 0
		.amdhsa_system_sgpr_workgroup_id_x 1
		.amdhsa_system_sgpr_workgroup_id_y 0
		.amdhsa_system_sgpr_workgroup_id_z 0
		.amdhsa_system_sgpr_workgroup_info 0
		.amdhsa_system_vgpr_workitem_id 1
		.amdhsa_next_free_vgpr 25
		.amdhsa_next_free_sgpr 21
		.amdhsa_reserve_vcc 1
		.amdhsa_reserve_flat_scratch 0
		.amdhsa_float_round_mode_32 0
		.amdhsa_float_round_mode_16_64 0
		.amdhsa_float_denorm_mode_32 3
		.amdhsa_float_denorm_mode_16_64 3
		.amdhsa_dx10_clamp 1
		.amdhsa_ieee_mode 1
		.amdhsa_fp16_overflow 0
		.amdhsa_workgroup_processor_mode 1
		.amdhsa_memory_ordered 1
		.amdhsa_forward_progress 1
		.amdhsa_shared_vgpr_count 0
		.amdhsa_exception_fp_ieee_invalid_op 0
		.amdhsa_exception_fp_denorm_src 0
		.amdhsa_exception_fp_ieee_div_zero 0
		.amdhsa_exception_fp_ieee_overflow 0
		.amdhsa_exception_fp_ieee_underflow 0
		.amdhsa_exception_fp_ieee_inexact 0
		.amdhsa_exception_int_div_zero 0
	.end_amdhsa_kernel
	.section	.text._ZN2at6native45tensor_kernel_scan_innermost_dim_with_indicesIN3c108BFloat16ESt13greater_equalIS3_EEEvPKT_PS6_PliijjS6_T0_,"axG",@progbits,_ZN2at6native45tensor_kernel_scan_innermost_dim_with_indicesIN3c108BFloat16ESt13greater_equalIS3_EEEvPKT_PS6_PliijjS6_T0_,comdat
.Lfunc_end18:
	.size	_ZN2at6native45tensor_kernel_scan_innermost_dim_with_indicesIN3c108BFloat16ESt13greater_equalIS3_EEEvPKT_PS6_PliijjS6_T0_, .Lfunc_end18-_ZN2at6native45tensor_kernel_scan_innermost_dim_with_indicesIN3c108BFloat16ESt13greater_equalIS3_EEEvPKT_PS6_PliijjS6_T0_
                                        ; -- End function
	.set _ZN2at6native45tensor_kernel_scan_innermost_dim_with_indicesIN3c108BFloat16ESt13greater_equalIS3_EEEvPKT_PS6_PliijjS6_T0_.num_vgpr, 25
	.set _ZN2at6native45tensor_kernel_scan_innermost_dim_with_indicesIN3c108BFloat16ESt13greater_equalIS3_EEEvPKT_PS6_PliijjS6_T0_.num_agpr, 0
	.set _ZN2at6native45tensor_kernel_scan_innermost_dim_with_indicesIN3c108BFloat16ESt13greater_equalIS3_EEEvPKT_PS6_PliijjS6_T0_.numbered_sgpr, 21
	.set _ZN2at6native45tensor_kernel_scan_innermost_dim_with_indicesIN3c108BFloat16ESt13greater_equalIS3_EEEvPKT_PS6_PliijjS6_T0_.num_named_barrier, 0
	.set _ZN2at6native45tensor_kernel_scan_innermost_dim_with_indicesIN3c108BFloat16ESt13greater_equalIS3_EEEvPKT_PS6_PliijjS6_T0_.private_seg_size, 0
	.set _ZN2at6native45tensor_kernel_scan_innermost_dim_with_indicesIN3c108BFloat16ESt13greater_equalIS3_EEEvPKT_PS6_PliijjS6_T0_.uses_vcc, 1
	.set _ZN2at6native45tensor_kernel_scan_innermost_dim_with_indicesIN3c108BFloat16ESt13greater_equalIS3_EEEvPKT_PS6_PliijjS6_T0_.uses_flat_scratch, 0
	.set _ZN2at6native45tensor_kernel_scan_innermost_dim_with_indicesIN3c108BFloat16ESt13greater_equalIS3_EEEvPKT_PS6_PliijjS6_T0_.has_dyn_sized_stack, 0
	.set _ZN2at6native45tensor_kernel_scan_innermost_dim_with_indicesIN3c108BFloat16ESt13greater_equalIS3_EEEvPKT_PS6_PliijjS6_T0_.has_recursion, 0
	.set _ZN2at6native45tensor_kernel_scan_innermost_dim_with_indicesIN3c108BFloat16ESt13greater_equalIS3_EEEvPKT_PS6_PliijjS6_T0_.has_indirect_call, 0
	.section	.AMDGPU.csdata,"",@progbits
; Kernel info:
; codeLenInByte = 1200
; TotalNumSgprs: 23
; NumVgprs: 25
; ScratchSize: 0
; MemoryBound: 0
; FloatMode: 240
; IeeeMode: 1
; LDSByteSize: 0 bytes/workgroup (compile time only)
; SGPRBlocks: 0
; VGPRBlocks: 3
; NumSGPRsForWavesPerEU: 23
; NumVGPRsForWavesPerEU: 25
; Occupancy: 16
; WaveLimiterHint : 0
; COMPUTE_PGM_RSRC2:SCRATCH_EN: 0
; COMPUTE_PGM_RSRC2:USER_SGPR: 6
; COMPUTE_PGM_RSRC2:TRAP_HANDLER: 0
; COMPUTE_PGM_RSRC2:TGID_X_EN: 1
; COMPUTE_PGM_RSRC2:TGID_Y_EN: 0
; COMPUTE_PGM_RSRC2:TGID_Z_EN: 0
; COMPUTE_PGM_RSRC2:TIDIG_COMP_CNT: 1
	.section	.text._ZN2at6native41tensor_kernel_scan_outer_dim_with_indicesIN3c108BFloat16ESt13greater_equalIS3_EEEvPKT_PS6_PljjjS6_T0_,"axG",@progbits,_ZN2at6native41tensor_kernel_scan_outer_dim_with_indicesIN3c108BFloat16ESt13greater_equalIS3_EEEvPKT_PS6_PljjjS6_T0_,comdat
	.protected	_ZN2at6native41tensor_kernel_scan_outer_dim_with_indicesIN3c108BFloat16ESt13greater_equalIS3_EEEvPKT_PS6_PljjjS6_T0_ ; -- Begin function _ZN2at6native41tensor_kernel_scan_outer_dim_with_indicesIN3c108BFloat16ESt13greater_equalIS3_EEEvPKT_PS6_PljjjS6_T0_
	.globl	_ZN2at6native41tensor_kernel_scan_outer_dim_with_indicesIN3c108BFloat16ESt13greater_equalIS3_EEEvPKT_PS6_PljjjS6_T0_
	.p2align	8
	.type	_ZN2at6native41tensor_kernel_scan_outer_dim_with_indicesIN3c108BFloat16ESt13greater_equalIS3_EEEvPKT_PS6_PljjjS6_T0_,@function
_ZN2at6native41tensor_kernel_scan_outer_dim_with_indicesIN3c108BFloat16ESt13greater_equalIS3_EEEvPKT_PS6_PljjjS6_T0_: ; @_ZN2at6native41tensor_kernel_scan_outer_dim_with_indicesIN3c108BFloat16ESt13greater_equalIS3_EEEvPKT_PS6_PljjjS6_T0_
; %bb.0:
	s_load_dwordx4 s[8:11], s[4:5], 0x18
	s_waitcnt lgkmcnt(0)
	s_cmp_ge_u32 s6, s8
	s_cbranch_scc1 .LBB19_13
; %bb.1:
	s_clause 0x3
	s_load_dword s0, s[4:5], 0x34
	s_load_dword s1, s[4:5], 0x28
	s_load_dwordx4 s[12:15], s[4:5], 0x0
	s_load_dwordx2 s[2:3], s[4:5], 0x10
	s_add_u32 s4, s4, 40
	s_addc_u32 s5, s5, 0
	s_mul_i32 s18, s6, s10
	v_mov_b32_e32 v2, 0
	s_mov_b32 s17, 0
	s_mov_b32 s16, s9
	s_mul_i32 s22, s18, s9
	s_waitcnt lgkmcnt(0)
	s_and_b32 s26, s0, 0xffff
	s_cmp_lg_u32 s10, 0
	v_mad_u64_u32 v[0:1], null, s7, s26, v[0:1]
	s_mul_i32 s7, s1, s10
	s_cselect_b32 s27, -1, 0
	s_mul_i32 s7, s7, s9
	s_lshl_b64 s[18:19], s[16:17], 3
	s_lshl_b64 s[20:21], s[16:17], 1
	s_mov_b32 s16, s22
	v_cmp_gt_u32_e64 s0, s9, v0
	s_branch .LBB19_3
.LBB19_2:                               ;   in Loop: Header=BB19_3 Depth=1
	s_or_b32 exec_lo, exec_lo, s28
	s_add_i32 s6, s1, s6
	s_add_i32 s16, s16, s7
	s_cmp_ge_u32 s6, s8
	s_cbranch_scc1 .LBB19_13
.LBB19_3:                               ; =>This Loop Header: Depth=1
                                        ;     Child Loop BB19_6 Depth 2
                                        ;       Child Loop BB19_9 Depth 3
	s_and_saveexec_b32 s28, s0
	s_cbranch_execz .LBB19_2
; %bb.4:                                ;   in Loop: Header=BB19_3 Depth=1
	s_load_dword s31, s[4:5], 0x4
	s_lshl_b64 s[24:25], s[16:17], 3
	v_mov_b32_e32 v1, v0
	s_lshl_b64 s[22:23], s[16:17], 1
	s_add_u32 s29, s2, s24
	s_addc_u32 s30, s3, s25
	s_mov_b32 s33, 0
	s_waitcnt lgkmcnt(0)
	s_mul_i32 s31, s31, s26
	s_branch .LBB19_6
.LBB19_5:                               ;   in Loop: Header=BB19_6 Depth=2
	s_inst_prefetch 0x2
	v_add_nc_u32_e32 v1, s31, v1
	v_cmp_le_u32_e32 vcc_lo, s9, v1
	s_or_b32 s33, vcc_lo, s33
	s_andn2_b32 exec_lo, exec_lo, s33
	s_cbranch_execz .LBB19_2
.LBB19_6:                               ;   Parent Loop BB19_3 Depth=1
                                        ; =>  This Loop Header: Depth=2
                                        ;       Child Loop BB19_9 Depth 3
	s_andn2_b32 vcc_lo, exec_lo, s27
	s_cbranch_vccnz .LBB19_5
; %bb.7:                                ;   in Loop: Header=BB19_6 Depth=2
	v_lshlrev_b64 v[3:4], 3, v[1:2]
	v_lshlrev_b64 v[5:6], 1, v[1:2]
	v_mov_b32_e32 v9, s11
	s_mov_b64 s[24:25], 0
	v_add_co_u32 v3, vcc_lo, s29, v3
	v_add_co_ci_u32_e64 v4, null, s30, v4, vcc_lo
	v_add_co_u32 v7, vcc_lo, s22, v5
	v_add_co_ci_u32_e64 v8, null, s23, v6, vcc_lo
	v_mov_b32_e32 v5, 0
	v_mov_b32_e32 v6, 0
	s_inst_prefetch 0x1
	s_branch .LBB19_9
	.p2align	6
.LBB19_8:                               ;   in Loop: Header=BB19_9 Depth=3
	s_or_b32 exec_lo, exec_lo, s35
	v_add_co_u32 v10, vcc_lo, s14, v7
	v_add_co_ci_u32_e64 v11, null, s15, v8, vcc_lo
	global_store_dwordx2 v[3:4], v[5:6], off
	v_add_co_u32 v3, vcc_lo, v3, s18
	v_add_co_ci_u32_e64 v4, null, s19, v4, vcc_lo
	v_add_co_u32 v7, vcc_lo, v7, s20
	v_add_co_ci_u32_e64 v8, null, s21, v8, vcc_lo
	s_add_u32 s24, s24, 1
	s_addc_u32 s25, s25, 0
	s_cmp_eq_u32 s10, s24
	global_store_short v[10:11], v9, off
	s_cbranch_scc1 .LBB19_5
.LBB19_9:                               ;   Parent Loop BB19_3 Depth=1
                                        ;     Parent Loop BB19_6 Depth=2
                                        ; =>    This Inner Loop Header: Depth=3
	v_add_co_u32 v10, vcc_lo, s12, v7
	v_add_co_ci_u32_e64 v11, null, s13, v8, vcc_lo
	s_mov_b32 s35, exec_lo
	global_load_ushort v10, v[10:11], off
	s_waitcnt vmcnt(0)
	v_lshlrev_b32_e32 v11, 16, v10
	v_cmp_u_f32_e64 s34, v11, v11
	v_cmpx_o_f32_e32 v11, v11
; %bb.10:                               ;   in Loop: Header=BB19_9 Depth=3
	v_lshlrev_b32_e32 v12, 16, v9
	s_andn2_b32 s34, s34, exec_lo
	v_cmp_ge_f32_e32 vcc_lo, v11, v12
	s_and_b32 s36, vcc_lo, exec_lo
	s_or_b32 s34, s34, s36
; %bb.11:                               ;   in Loop: Header=BB19_9 Depth=3
	s_or_b32 exec_lo, exec_lo, s35
	s_and_saveexec_b32 s35, s34
	s_cbranch_execz .LBB19_8
; %bb.12:                               ;   in Loop: Header=BB19_9 Depth=3
	v_mov_b32_e32 v5, s24
	v_mov_b32_e32 v6, s25
	;; [unrolled: 1-line block ×3, first 2 shown]
	s_branch .LBB19_8
.LBB19_13:
	s_endpgm
	.section	.rodata,"a",@progbits
	.p2align	6, 0x0
	.amdhsa_kernel _ZN2at6native41tensor_kernel_scan_outer_dim_with_indicesIN3c108BFloat16ESt13greater_equalIS3_EEEvPKT_PS6_PljjjS6_T0_
		.amdhsa_group_segment_fixed_size 0
		.amdhsa_private_segment_fixed_size 0
		.amdhsa_kernarg_size 296
		.amdhsa_user_sgpr_count 6
		.amdhsa_user_sgpr_private_segment_buffer 1
		.amdhsa_user_sgpr_dispatch_ptr 0
		.amdhsa_user_sgpr_queue_ptr 0
		.amdhsa_user_sgpr_kernarg_segment_ptr 1
		.amdhsa_user_sgpr_dispatch_id 0
		.amdhsa_user_sgpr_flat_scratch_init 0
		.amdhsa_user_sgpr_private_segment_size 0
		.amdhsa_wavefront_size32 1
		.amdhsa_uses_dynamic_stack 0
		.amdhsa_system_sgpr_private_segment_wavefront_offset 0
		.amdhsa_system_sgpr_workgroup_id_x 1
		.amdhsa_system_sgpr_workgroup_id_y 1
		.amdhsa_system_sgpr_workgroup_id_z 0
		.amdhsa_system_sgpr_workgroup_info 0
		.amdhsa_system_vgpr_workitem_id 0
		.amdhsa_next_free_vgpr 13
		.amdhsa_next_free_sgpr 37
		.amdhsa_reserve_vcc 1
		.amdhsa_reserve_flat_scratch 0
		.amdhsa_float_round_mode_32 0
		.amdhsa_float_round_mode_16_64 0
		.amdhsa_float_denorm_mode_32 3
		.amdhsa_float_denorm_mode_16_64 3
		.amdhsa_dx10_clamp 1
		.amdhsa_ieee_mode 1
		.amdhsa_fp16_overflow 0
		.amdhsa_workgroup_processor_mode 1
		.amdhsa_memory_ordered 1
		.amdhsa_forward_progress 1
		.amdhsa_shared_vgpr_count 0
		.amdhsa_exception_fp_ieee_invalid_op 0
		.amdhsa_exception_fp_denorm_src 0
		.amdhsa_exception_fp_ieee_div_zero 0
		.amdhsa_exception_fp_ieee_overflow 0
		.amdhsa_exception_fp_ieee_underflow 0
		.amdhsa_exception_fp_ieee_inexact 0
		.amdhsa_exception_int_div_zero 0
	.end_amdhsa_kernel
	.section	.text._ZN2at6native41tensor_kernel_scan_outer_dim_with_indicesIN3c108BFloat16ESt13greater_equalIS3_EEEvPKT_PS6_PljjjS6_T0_,"axG",@progbits,_ZN2at6native41tensor_kernel_scan_outer_dim_with_indicesIN3c108BFloat16ESt13greater_equalIS3_EEEvPKT_PS6_PljjjS6_T0_,comdat
.Lfunc_end19:
	.size	_ZN2at6native41tensor_kernel_scan_outer_dim_with_indicesIN3c108BFloat16ESt13greater_equalIS3_EEEvPKT_PS6_PljjjS6_T0_, .Lfunc_end19-_ZN2at6native41tensor_kernel_scan_outer_dim_with_indicesIN3c108BFloat16ESt13greater_equalIS3_EEEvPKT_PS6_PljjjS6_T0_
                                        ; -- End function
	.set _ZN2at6native41tensor_kernel_scan_outer_dim_with_indicesIN3c108BFloat16ESt13greater_equalIS3_EEEvPKT_PS6_PljjjS6_T0_.num_vgpr, 13
	.set _ZN2at6native41tensor_kernel_scan_outer_dim_with_indicesIN3c108BFloat16ESt13greater_equalIS3_EEEvPKT_PS6_PljjjS6_T0_.num_agpr, 0
	.set _ZN2at6native41tensor_kernel_scan_outer_dim_with_indicesIN3c108BFloat16ESt13greater_equalIS3_EEEvPKT_PS6_PljjjS6_T0_.numbered_sgpr, 37
	.set _ZN2at6native41tensor_kernel_scan_outer_dim_with_indicesIN3c108BFloat16ESt13greater_equalIS3_EEEvPKT_PS6_PljjjS6_T0_.num_named_barrier, 0
	.set _ZN2at6native41tensor_kernel_scan_outer_dim_with_indicesIN3c108BFloat16ESt13greater_equalIS3_EEEvPKT_PS6_PljjjS6_T0_.private_seg_size, 0
	.set _ZN2at6native41tensor_kernel_scan_outer_dim_with_indicesIN3c108BFloat16ESt13greater_equalIS3_EEEvPKT_PS6_PljjjS6_T0_.uses_vcc, 1
	.set _ZN2at6native41tensor_kernel_scan_outer_dim_with_indicesIN3c108BFloat16ESt13greater_equalIS3_EEEvPKT_PS6_PljjjS6_T0_.uses_flat_scratch, 0
	.set _ZN2at6native41tensor_kernel_scan_outer_dim_with_indicesIN3c108BFloat16ESt13greater_equalIS3_EEEvPKT_PS6_PljjjS6_T0_.has_dyn_sized_stack, 0
	.set _ZN2at6native41tensor_kernel_scan_outer_dim_with_indicesIN3c108BFloat16ESt13greater_equalIS3_EEEvPKT_PS6_PljjjS6_T0_.has_recursion, 0
	.set _ZN2at6native41tensor_kernel_scan_outer_dim_with_indicesIN3c108BFloat16ESt13greater_equalIS3_EEEvPKT_PS6_PljjjS6_T0_.has_indirect_call, 0
	.section	.AMDGPU.csdata,"",@progbits
; Kernel info:
; codeLenInByte = 504
; TotalNumSgprs: 39
; NumVgprs: 13
; ScratchSize: 0
; MemoryBound: 0
; FloatMode: 240
; IeeeMode: 1
; LDSByteSize: 0 bytes/workgroup (compile time only)
; SGPRBlocks: 0
; VGPRBlocks: 1
; NumSGPRsForWavesPerEU: 39
; NumVGPRsForWavesPerEU: 13
; Occupancy: 16
; WaveLimiterHint : 0
; COMPUTE_PGM_RSRC2:SCRATCH_EN: 0
; COMPUTE_PGM_RSRC2:USER_SGPR: 6
; COMPUTE_PGM_RSRC2:TRAP_HANDLER: 0
; COMPUTE_PGM_RSRC2:TGID_X_EN: 1
; COMPUTE_PGM_RSRC2:TGID_Y_EN: 1
; COMPUTE_PGM_RSRC2:TGID_Z_EN: 0
; COMPUTE_PGM_RSRC2:TIDIG_COMP_CNT: 0
	.section	.text._ZN2at6native45tensor_kernel_scan_innermost_dim_with_indicesIhSt10less_equalIhEEEvPKT_PS4_PliijjS4_T0_,"axG",@progbits,_ZN2at6native45tensor_kernel_scan_innermost_dim_with_indicesIhSt10less_equalIhEEEvPKT_PS4_PliijjS4_T0_,comdat
	.protected	_ZN2at6native45tensor_kernel_scan_innermost_dim_with_indicesIhSt10less_equalIhEEEvPKT_PS4_PliijjS4_T0_ ; -- Begin function _ZN2at6native45tensor_kernel_scan_innermost_dim_with_indicesIhSt10less_equalIhEEEvPKT_PS4_PliijjS4_T0_
	.globl	_ZN2at6native45tensor_kernel_scan_innermost_dim_with_indicesIhSt10less_equalIhEEEvPKT_PS4_PliijjS4_T0_
	.p2align	8
	.type	_ZN2at6native45tensor_kernel_scan_innermost_dim_with_indicesIhSt10less_equalIhEEEvPKT_PS4_PliijjS4_T0_,@function
_ZN2at6native45tensor_kernel_scan_innermost_dim_with_indicesIhSt10less_equalIhEEEvPKT_PS4_PliijjS4_T0_: ; @_ZN2at6native45tensor_kernel_scan_innermost_dim_with_indicesIhSt10less_equalIhEEEvPKT_PS4_PliijjS4_T0_
; %bb.0:
	s_clause 0x1
	s_load_dword s2, s[4:5], 0x3c
	s_load_dwordx4 s[8:11], s[4:5], 0x18
	s_add_u32 s0, s4, 48
	s_addc_u32 s1, s5, 0
	s_waitcnt lgkmcnt(0)
	s_lshr_b32 s2, s2, 16
	s_mul_i32 s3, s6, s2
	s_cmp_ge_i32 s3, s8
	s_cbranch_scc1 .LBB20_31
; %bb.1:
	s_lshl_b32 s6, 2, s11
	s_clause 0x2
	s_load_dword s7, s[4:5], 0x28
	s_load_dwordx4 s[12:15], s[4:5], 0x0
	s_load_dwordx2 s[4:5], s[4:5], 0x10
	v_mul_lo_u32 v2, s6, v1
	s_load_dword s1, s[0:1], 0x0
	s_lshl_b32 s16, s10, 1
	s_lshl_b32 s10, 1, s11
	s_cmp_gt_i32 s9, 0
	v_add_nc_u32_e32 v8, s10, v0
	s_cselect_b32 s11, -1, 0
	v_cmp_eq_u32_e64 s0, 0, v0
	v_lshlrev_b32_e32 v3, 3, v2
	v_add_nc_u32_e32 v9, 0, v2
	v_add3_u32 v10, 0, s16, v3
	v_add_nc_u32_e32 v2, s10, v9
	s_add_i32 s16, s6, -1
	v_add_nc_u32_e32 v12, v9, v0
	v_add_nc_u32_e32 v13, v9, v8
	v_lshl_add_u32 v11, v0, 3, v10
	v_lshl_add_u32 v14, s16, 3, v10
	v_add_nc_u32_e32 v15, v2, v0
	v_add_nc_u32_e32 v17, s16, v9
	s_waitcnt lgkmcnt(0)
	s_mul_i32 s16, s1, s2
	v_lshl_add_u32 v16, s10, 3, v11
	s_branch .LBB20_3
.LBB20_2:                               ;   in Loop: Header=BB20_3 Depth=1
	s_add_i32 s3, s16, s3
	s_cmp_ge_i32 s3, s8
	s_cbranch_scc1 .LBB20_31
.LBB20_3:                               ; =>This Loop Header: Depth=1
                                        ;     Child Loop BB20_6 Depth 2
                                        ;       Child Loop BB20_21 Depth 3
	s_andn2_b32 vcc_lo, exec_lo, s11
	s_cbranch_vccnz .LBB20_2
; %bb.4:                                ;   in Loop: Header=BB20_3 Depth=1
	v_add_nc_u32_e32 v4, s3, v1
	v_mov_b32_e32 v6, 0
	v_mov_b32_e32 v7, 0
	;; [unrolled: 1-line block ×3, first 2 shown]
	s_mov_b32 s17, 0
	v_mul_lo_u32 v2, v4, s9
	v_cmp_gt_i32_e32 vcc_lo, s8, v4
	v_cmp_le_i32_e64 s1, s8, v4
	v_ashrrev_i32_e32 v3, 31, v2
	v_add_co_u32 v18, s2, s12, v2
	v_lshlrev_b64 v[4:5], 3, v[2:3]
	v_add_co_ci_u32_e64 v19, null, s13, v3, s2
	v_add_co_u32 v20, s2, s14, v2
	v_add_co_ci_u32_e64 v21, null, s15, v3, s2
	v_add_co_u32 v22, s2, s4, v4
	v_add_co_ci_u32_e64 v23, null, s5, v5, s2
	s_branch .LBB20_6
.LBB20_5:                               ;   in Loop: Header=BB20_6 Depth=2
	s_or_b32 exec_lo, exec_lo, s18
	ds_read_u8 v24, v17
	ds_read_b64 v[6:7], v14
	s_add_i32 s17, s17, s6
	s_waitcnt lgkmcnt(0)
	s_waitcnt_vscnt null, 0x0
	s_cmp_ge_i32 s17, s9
	s_barrier
	buffer_gl0_inv
	s_cbranch_scc1 .LBB20_2
.LBB20_6:                               ;   Parent Loop BB20_3 Depth=1
                                        ; =>  This Loop Header: Depth=2
                                        ;       Child Loop BB20_21 Depth 3
	v_add_nc_u32_e32 v4, s17, v0
	v_add_nc_u32_e32 v2, s17, v8
	s_and_saveexec_b32 s18, vcc_lo
	s_cbranch_execz .LBB20_18
; %bb.7:                                ;   in Loop: Header=BB20_6 Depth=2
	v_cmp_le_i32_e64 s2, s9, v4
	s_and_saveexec_b32 s19, s2
	s_xor_b32 s2, exec_lo, s19
; %bb.8:                                ;   in Loop: Header=BB20_6 Depth=2
	v_mov_b32_e32 v3, s7
	ds_write_b8 v12, v3
; %bb.9:                                ;   in Loop: Header=BB20_6 Depth=2
	s_andn2_saveexec_b32 s19, s2
	s_cbranch_execz .LBB20_11
; %bb.10:                               ;   in Loop: Header=BB20_6 Depth=2
	v_ashrrev_i32_e32 v5, 31, v4
	v_add_co_u32 v25, s2, v18, v4
	v_add_co_ci_u32_e64 v26, null, v19, v5, s2
	global_load_ubyte v3, v[25:26], off
	s_waitcnt vmcnt(0)
	ds_write_b8 v12, v3
	ds_write_b64 v11, v[4:5]
.LBB20_11:                              ;   in Loop: Header=BB20_6 Depth=2
	s_or_b32 exec_lo, exec_lo, s19
	v_cmp_le_i32_e64 s2, s9, v2
	s_and_saveexec_b32 s19, s2
	s_xor_b32 s2, exec_lo, s19
	s_cbranch_execnz .LBB20_14
; %bb.12:                               ;   in Loop: Header=BB20_6 Depth=2
	s_andn2_saveexec_b32 s19, s2
	s_cbranch_execnz .LBB20_15
.LBB20_13:                              ;   in Loop: Header=BB20_6 Depth=2
	s_or_b32 exec_lo, exec_lo, s19
	s_and_b32 exec_lo, exec_lo, s0
	s_cbranch_execnz .LBB20_16
	s_branch .LBB20_18
.LBB20_14:                              ;   in Loop: Header=BB20_6 Depth=2
	v_mov_b32_e32 v3, s7
	ds_write_b8 v15, v3
	s_andn2_saveexec_b32 s19, s2
	s_cbranch_execz .LBB20_13
.LBB20_15:                              ;   in Loop: Header=BB20_6 Depth=2
	v_ashrrev_i32_e32 v3, 31, v2
	v_add_co_u32 v25, s2, v18, v2
	v_add_co_ci_u32_e64 v26, null, v19, v3, s2
	global_load_ubyte v5, v[25:26], off
	s_waitcnt vmcnt(0)
	ds_write_b8 v13, v5
	ds_write_b64 v16, v[2:3]
	s_or_b32 exec_lo, exec_lo, s19
	s_and_b32 exec_lo, exec_lo, s0
	s_cbranch_execz .LBB20_18
.LBB20_16:                              ;   in Loop: Header=BB20_6 Depth=2
	ds_read_u8 v3, v9
	s_waitcnt lgkmcnt(0)
	v_cmp_gt_u16_sdwa s2, v3, v24 src0_sel:DWORD src1_sel:BYTE_0
	s_and_b32 exec_lo, exec_lo, s2
	s_cbranch_execz .LBB20_18
; %bb.17:                               ;   in Loop: Header=BB20_6 Depth=2
	ds_write_b8 v9, v24
	ds_write_b64 v10, v[6:7]
.LBB20_18:                              ;   in Loop: Header=BB20_6 Depth=2
	s_or_b32 exec_lo, exec_lo, s18
	v_mov_b32_e32 v3, 1
	s_mov_b32 s18, 0
	s_waitcnt lgkmcnt(0)
	s_barrier
	buffer_gl0_inv
	s_inst_prefetch 0x1
	s_branch .LBB20_21
	.p2align	6
.LBB20_19:                              ;   in Loop: Header=BB20_21 Depth=3
	s_or_b32 exec_lo, exec_lo, s20
	v_mov_b32_e32 v3, v5
.LBB20_20:                              ;   in Loop: Header=BB20_21 Depth=3
	s_or_b32 exec_lo, exec_lo, s19
	v_cmp_lt_u32_e64 s2, s10, v3
	s_waitcnt lgkmcnt(0)
	s_barrier
	buffer_gl0_inv
	s_or_b32 s18, s2, s18
	s_andn2_b32 exec_lo, exec_lo, s18
	s_cbranch_execz .LBB20_26
.LBB20_21:                              ;   Parent Loop BB20_3 Depth=1
                                        ;     Parent Loop BB20_6 Depth=2
                                        ; =>    This Inner Loop Header: Depth=3
	v_lshlrev_b32_e32 v5, 1, v3
	s_and_saveexec_b32 s2, s1
	s_xor_b32 s2, exec_lo, s2
; %bb.22:                               ;   in Loop: Header=BB20_21 Depth=3
	v_lshlrev_b32_e32 v3, 1, v3
                                        ; implicit-def: $vgpr5
; %bb.23:                               ;   in Loop: Header=BB20_21 Depth=3
	s_andn2_saveexec_b32 s19, s2
	s_cbranch_execz .LBB20_20
; %bb.24:                               ;   in Loop: Header=BB20_21 Depth=3
	v_ffbl_b32_e32 v6, v3
	v_add_nc_u32_e32 v7, -1, v3
	s_mov_b32 s20, exec_lo
	v_lshrrev_b32_e32 v6, v6, v0
	v_mad_u64_u32 v[24:25], null, v5, v6, v[3:4]
	v_and_b32_e32 v3, v7, v0
	v_add_nc_u32_e32 v6, -1, v24
	v_add_nc_u32_e32 v3, v24, v3
	v_add_nc_u32_e32 v24, v9, v6
	;; [unrolled: 1-line block ×3, first 2 shown]
	ds_read_u8 v24, v24
	ds_read_u8 v25, v7
	s_waitcnt lgkmcnt(0)
	v_cmpx_gt_u16_e64 v25, v24
	s_cbranch_execz .LBB20_19
; %bb.25:                               ;   in Loop: Header=BB20_21 Depth=3
	v_lshl_add_u32 v6, v6, 3, v10
	v_lshl_add_u32 v3, v3, 3, v10
	ds_read_b64 v[25:26], v6
	ds_write_b8 v7, v24
	s_waitcnt lgkmcnt(1)
	ds_write_b64 v3, v[25:26]
	s_branch .LBB20_19
.LBB20_26:                              ;   in Loop: Header=BB20_6 Depth=2
	s_inst_prefetch 0x2
	s_or_b32 exec_lo, exec_lo, s18
	s_and_saveexec_b32 s18, vcc_lo
	s_cbranch_execz .LBB20_5
; %bb.27:                               ;   in Loop: Header=BB20_6 Depth=2
	s_mov_b32 s19, exec_lo
	v_cmpx_gt_i32_e64 s9, v4
	s_cbranch_execz .LBB20_29
; %bb.28:                               ;   in Loop: Header=BB20_6 Depth=2
	ds_read_u8 v26, v12
	ds_read_b64 v[6:7], v11
	v_ashrrev_i32_e32 v5, 31, v4
	v_add_co_u32 v3, s2, v20, v4
	v_lshlrev_b64 v[24:25], 3, v[4:5]
	v_add_co_ci_u32_e64 v4, null, v21, v5, s2
	v_add_co_u32 v24, s2, v22, v24
	v_add_co_ci_u32_e64 v25, null, v23, v25, s2
	s_waitcnt lgkmcnt(1)
	global_store_byte v[3:4], v26, off
	s_waitcnt lgkmcnt(0)
	global_store_dwordx2 v[24:25], v[6:7], off
.LBB20_29:                              ;   in Loop: Header=BB20_6 Depth=2
	s_or_b32 exec_lo, exec_lo, s19
	v_cmp_gt_i32_e64 s2, s9, v2
	s_and_b32 exec_lo, exec_lo, s2
	s_cbranch_execz .LBB20_5
; %bb.30:                               ;   in Loop: Header=BB20_6 Depth=2
	ds_read_u8 v24, v13
	ds_read_b64 v[4:5], v16
	v_ashrrev_i32_e32 v3, 31, v2
	v_lshlrev_b64 v[6:7], 3, v[2:3]
	v_add_co_u32 v2, s2, v20, v2
	v_add_co_ci_u32_e64 v3, null, v21, v3, s2
	v_add_co_u32 v6, s2, v22, v6
	v_add_co_ci_u32_e64 v7, null, v23, v7, s2
	s_waitcnt lgkmcnt(1)
	global_store_byte v[2:3], v24, off
	s_waitcnt lgkmcnt(0)
	global_store_dwordx2 v[6:7], v[4:5], off
	s_branch .LBB20_5
.LBB20_31:
	s_endpgm
	.section	.rodata,"a",@progbits
	.p2align	6, 0x0
	.amdhsa_kernel _ZN2at6native45tensor_kernel_scan_innermost_dim_with_indicesIhSt10less_equalIhEEEvPKT_PS4_PliijjS4_T0_
		.amdhsa_group_segment_fixed_size 0
		.amdhsa_private_segment_fixed_size 0
		.amdhsa_kernarg_size 304
		.amdhsa_user_sgpr_count 6
		.amdhsa_user_sgpr_private_segment_buffer 1
		.amdhsa_user_sgpr_dispatch_ptr 0
		.amdhsa_user_sgpr_queue_ptr 0
		.amdhsa_user_sgpr_kernarg_segment_ptr 1
		.amdhsa_user_sgpr_dispatch_id 0
		.amdhsa_user_sgpr_flat_scratch_init 0
		.amdhsa_user_sgpr_private_segment_size 0
		.amdhsa_wavefront_size32 1
		.amdhsa_uses_dynamic_stack 0
		.amdhsa_system_sgpr_private_segment_wavefront_offset 0
		.amdhsa_system_sgpr_workgroup_id_x 1
		.amdhsa_system_sgpr_workgroup_id_y 0
		.amdhsa_system_sgpr_workgroup_id_z 0
		.amdhsa_system_sgpr_workgroup_info 0
		.amdhsa_system_vgpr_workitem_id 1
		.amdhsa_next_free_vgpr 27
		.amdhsa_next_free_sgpr 21
		.amdhsa_reserve_vcc 1
		.amdhsa_reserve_flat_scratch 0
		.amdhsa_float_round_mode_32 0
		.amdhsa_float_round_mode_16_64 0
		.amdhsa_float_denorm_mode_32 3
		.amdhsa_float_denorm_mode_16_64 3
		.amdhsa_dx10_clamp 1
		.amdhsa_ieee_mode 1
		.amdhsa_fp16_overflow 0
		.amdhsa_workgroup_processor_mode 1
		.amdhsa_memory_ordered 1
		.amdhsa_forward_progress 1
		.amdhsa_shared_vgpr_count 0
		.amdhsa_exception_fp_ieee_invalid_op 0
		.amdhsa_exception_fp_denorm_src 0
		.amdhsa_exception_fp_ieee_div_zero 0
		.amdhsa_exception_fp_ieee_overflow 0
		.amdhsa_exception_fp_ieee_underflow 0
		.amdhsa_exception_fp_ieee_inexact 0
		.amdhsa_exception_int_div_zero 0
	.end_amdhsa_kernel
	.section	.text._ZN2at6native45tensor_kernel_scan_innermost_dim_with_indicesIhSt10less_equalIhEEEvPKT_PS4_PliijjS4_T0_,"axG",@progbits,_ZN2at6native45tensor_kernel_scan_innermost_dim_with_indicesIhSt10less_equalIhEEEvPKT_PS4_PliijjS4_T0_,comdat
.Lfunc_end20:
	.size	_ZN2at6native45tensor_kernel_scan_innermost_dim_with_indicesIhSt10less_equalIhEEEvPKT_PS4_PliijjS4_T0_, .Lfunc_end20-_ZN2at6native45tensor_kernel_scan_innermost_dim_with_indicesIhSt10less_equalIhEEEvPKT_PS4_PliijjS4_T0_
                                        ; -- End function
	.set _ZN2at6native45tensor_kernel_scan_innermost_dim_with_indicesIhSt10less_equalIhEEEvPKT_PS4_PliijjS4_T0_.num_vgpr, 27
	.set _ZN2at6native45tensor_kernel_scan_innermost_dim_with_indicesIhSt10less_equalIhEEEvPKT_PS4_PliijjS4_T0_.num_agpr, 0
	.set _ZN2at6native45tensor_kernel_scan_innermost_dim_with_indicesIhSt10less_equalIhEEEvPKT_PS4_PliijjS4_T0_.numbered_sgpr, 21
	.set _ZN2at6native45tensor_kernel_scan_innermost_dim_with_indicesIhSt10less_equalIhEEEvPKT_PS4_PliijjS4_T0_.num_named_barrier, 0
	.set _ZN2at6native45tensor_kernel_scan_innermost_dim_with_indicesIhSt10less_equalIhEEEvPKT_PS4_PliijjS4_T0_.private_seg_size, 0
	.set _ZN2at6native45tensor_kernel_scan_innermost_dim_with_indicesIhSt10less_equalIhEEEvPKT_PS4_PliijjS4_T0_.uses_vcc, 1
	.set _ZN2at6native45tensor_kernel_scan_innermost_dim_with_indicesIhSt10less_equalIhEEEvPKT_PS4_PliijjS4_T0_.uses_flat_scratch, 0
	.set _ZN2at6native45tensor_kernel_scan_innermost_dim_with_indicesIhSt10less_equalIhEEEvPKT_PS4_PliijjS4_T0_.has_dyn_sized_stack, 0
	.set _ZN2at6native45tensor_kernel_scan_innermost_dim_with_indicesIhSt10less_equalIhEEEvPKT_PS4_PliijjS4_T0_.has_recursion, 0
	.set _ZN2at6native45tensor_kernel_scan_innermost_dim_with_indicesIhSt10less_equalIhEEEvPKT_PS4_PliijjS4_T0_.has_indirect_call, 0
	.section	.AMDGPU.csdata,"",@progbits
; Kernel info:
; codeLenInByte = 1128
; TotalNumSgprs: 23
; NumVgprs: 27
; ScratchSize: 0
; MemoryBound: 0
; FloatMode: 240
; IeeeMode: 1
; LDSByteSize: 0 bytes/workgroup (compile time only)
; SGPRBlocks: 0
; VGPRBlocks: 3
; NumSGPRsForWavesPerEU: 23
; NumVGPRsForWavesPerEU: 27
; Occupancy: 16
; WaveLimiterHint : 0
; COMPUTE_PGM_RSRC2:SCRATCH_EN: 0
; COMPUTE_PGM_RSRC2:USER_SGPR: 6
; COMPUTE_PGM_RSRC2:TRAP_HANDLER: 0
; COMPUTE_PGM_RSRC2:TGID_X_EN: 1
; COMPUTE_PGM_RSRC2:TGID_Y_EN: 0
; COMPUTE_PGM_RSRC2:TGID_Z_EN: 0
; COMPUTE_PGM_RSRC2:TIDIG_COMP_CNT: 1
	.section	.text._ZN2at6native41tensor_kernel_scan_outer_dim_with_indicesIhSt10less_equalIhEEEvPKT_PS4_PljjjS4_T0_,"axG",@progbits,_ZN2at6native41tensor_kernel_scan_outer_dim_with_indicesIhSt10less_equalIhEEEvPKT_PS4_PljjjS4_T0_,comdat
	.protected	_ZN2at6native41tensor_kernel_scan_outer_dim_with_indicesIhSt10less_equalIhEEEvPKT_PS4_PljjjS4_T0_ ; -- Begin function _ZN2at6native41tensor_kernel_scan_outer_dim_with_indicesIhSt10less_equalIhEEEvPKT_PS4_PljjjS4_T0_
	.globl	_ZN2at6native41tensor_kernel_scan_outer_dim_with_indicesIhSt10less_equalIhEEEvPKT_PS4_PljjjS4_T0_
	.p2align	8
	.type	_ZN2at6native41tensor_kernel_scan_outer_dim_with_indicesIhSt10less_equalIhEEEvPKT_PS4_PljjjS4_T0_,@function
_ZN2at6native41tensor_kernel_scan_outer_dim_with_indicesIhSt10less_equalIhEEEvPKT_PS4_PljjjS4_T0_: ; @_ZN2at6native41tensor_kernel_scan_outer_dim_with_indicesIhSt10less_equalIhEEEvPKT_PS4_PljjjS4_T0_
; %bb.0:
	s_load_dwordx4 s[8:11], s[4:5], 0x18
	s_waitcnt lgkmcnt(0)
	s_cmp_ge_u32 s6, s8
	s_cbranch_scc1 .LBB21_9
; %bb.1:
	s_clause 0x3
	s_load_dword s0, s[4:5], 0x34
	s_load_dword s1, s[4:5], 0x28
	s_load_dwordx4 s[12:15], s[4:5], 0x0
	s_load_dwordx2 s[2:3], s[4:5], 0x10
	s_add_u32 s4, s4, 40
	s_addc_u32 s5, s5, 0
	s_mov_b32 s17, 0
	v_mov_b32_e32 v2, 0
	s_mov_b32 s18, s9
	s_mul_i32 s16, s6, s10
	s_mov_b32 s19, s17
	s_mul_i32 s16, s16, s9
	s_waitcnt lgkmcnt(0)
	s_and_b32 s24, s0, 0xffff
	s_cmp_lg_u32 s10, 0
	v_mad_u64_u32 v[0:1], null, s7, s24, v[0:1]
	s_mul_i32 s25, s1, s10
	s_cselect_b32 s7, -1, 0
	s_mul_i32 s25, s25, s9
	s_lshl_b64 s[20:21], s[18:19], 3
	v_cmp_gt_u32_e64 s0, s9, v0
	s_branch .LBB21_3
.LBB21_2:                               ;   in Loop: Header=BB21_3 Depth=1
	s_or_b32 exec_lo, exec_lo, s19
	s_add_i32 s6, s1, s6
	s_add_i32 s16, s16, s25
	s_cmp_ge_u32 s6, s8
	s_cbranch_scc1 .LBB21_9
.LBB21_3:                               ; =>This Loop Header: Depth=1
                                        ;     Child Loop BB21_6 Depth 2
                                        ;       Child Loop BB21_8 Depth 3
	s_and_saveexec_b32 s19, s0
	s_cbranch_execz .LBB21_2
; %bb.4:                                ;   in Loop: Header=BB21_3 Depth=1
	s_load_dword s28, s[4:5], 0x4
	s_lshl_b64 s[22:23], s[16:17], 3
	v_mov_b32_e32 v1, v0
	s_add_u32 s26, s2, s22
	s_addc_u32 s27, s3, s23
	s_mov_b32 s29, 0
	s_waitcnt lgkmcnt(0)
	s_mul_i32 s28, s28, s24
	s_branch .LBB21_6
.LBB21_5:                               ;   in Loop: Header=BB21_6 Depth=2
	s_inst_prefetch 0x2
	v_add_nc_u32_e32 v1, s28, v1
	v_cmp_le_u32_e32 vcc_lo, s9, v1
	s_or_b32 s29, vcc_lo, s29
	s_andn2_b32 exec_lo, exec_lo, s29
	s_cbranch_execz .LBB21_2
.LBB21_6:                               ;   Parent Loop BB21_3 Depth=1
                                        ; =>  This Loop Header: Depth=2
                                        ;       Child Loop BB21_8 Depth 3
	s_andn2_b32 vcc_lo, exec_lo, s7
	s_cbranch_vccnz .LBB21_5
; %bb.7:                                ;   in Loop: Header=BB21_6 Depth=2
	v_lshlrev_b64 v[3:4], 3, v[1:2]
	v_add_co_u32 v7, s22, s16, v1
	v_mov_b32_e32 v5, 0
	v_add_co_ci_u32_e64 v8, null, 0, 0, s22
	v_add_co_u32 v3, vcc_lo, s26, v3
	v_add_co_ci_u32_e64 v4, null, s27, v4, vcc_lo
	v_mov_b32_e32 v6, 0
	v_mov_b32_e32 v9, s11
	s_mov_b64 s[22:23], 0
	s_inst_prefetch 0x1
	.p2align	6
.LBB21_8:                               ;   Parent Loop BB21_3 Depth=1
                                        ;     Parent Loop BB21_6 Depth=2
                                        ; =>    This Inner Loop Header: Depth=3
	v_add_co_u32 v10, vcc_lo, s12, v7
	v_add_co_ci_u32_e64 v11, null, s13, v8, vcc_lo
	v_and_b32_e32 v9, 0xff, v9
	global_load_ubyte v12, v[10:11], off
	v_add_co_u32 v10, vcc_lo, s14, v7
	v_add_co_ci_u32_e64 v11, null, s15, v8, vcc_lo
	v_add_co_u32 v7, vcc_lo, v7, s18
	v_add_co_ci_u32_e64 v8, null, 0, v8, vcc_lo
	s_waitcnt vmcnt(0)
	v_cmp_gt_u16_e32 vcc_lo, v12, v9
	v_min_u16 v9, v12, v9
	v_cndmask_b32_e32 v6, s23, v6, vcc_lo
	v_cndmask_b32_e32 v5, s22, v5, vcc_lo
	global_store_byte v[10:11], v9, off
	s_add_u32 s22, s22, 1
	s_addc_u32 s23, s23, 0
	s_cmp_eq_u32 s10, s22
	global_store_dwordx2 v[3:4], v[5:6], off
	v_add_co_u32 v3, vcc_lo, v3, s20
	v_add_co_ci_u32_e64 v4, null, s21, v4, vcc_lo
	s_cbranch_scc0 .LBB21_8
	s_branch .LBB21_5
.LBB21_9:
	s_endpgm
	.section	.rodata,"a",@progbits
	.p2align	6, 0x0
	.amdhsa_kernel _ZN2at6native41tensor_kernel_scan_outer_dim_with_indicesIhSt10less_equalIhEEEvPKT_PS4_PljjjS4_T0_
		.amdhsa_group_segment_fixed_size 0
		.amdhsa_private_segment_fixed_size 0
		.amdhsa_kernarg_size 296
		.amdhsa_user_sgpr_count 6
		.amdhsa_user_sgpr_private_segment_buffer 1
		.amdhsa_user_sgpr_dispatch_ptr 0
		.amdhsa_user_sgpr_queue_ptr 0
		.amdhsa_user_sgpr_kernarg_segment_ptr 1
		.amdhsa_user_sgpr_dispatch_id 0
		.amdhsa_user_sgpr_flat_scratch_init 0
		.amdhsa_user_sgpr_private_segment_size 0
		.amdhsa_wavefront_size32 1
		.amdhsa_uses_dynamic_stack 0
		.amdhsa_system_sgpr_private_segment_wavefront_offset 0
		.amdhsa_system_sgpr_workgroup_id_x 1
		.amdhsa_system_sgpr_workgroup_id_y 1
		.amdhsa_system_sgpr_workgroup_id_z 0
		.amdhsa_system_sgpr_workgroup_info 0
		.amdhsa_system_vgpr_workitem_id 0
		.amdhsa_next_free_vgpr 13
		.amdhsa_next_free_sgpr 30
		.amdhsa_reserve_vcc 1
		.amdhsa_reserve_flat_scratch 0
		.amdhsa_float_round_mode_32 0
		.amdhsa_float_round_mode_16_64 0
		.amdhsa_float_denorm_mode_32 3
		.amdhsa_float_denorm_mode_16_64 3
		.amdhsa_dx10_clamp 1
		.amdhsa_ieee_mode 1
		.amdhsa_fp16_overflow 0
		.amdhsa_workgroup_processor_mode 1
		.amdhsa_memory_ordered 1
		.amdhsa_forward_progress 1
		.amdhsa_shared_vgpr_count 0
		.amdhsa_exception_fp_ieee_invalid_op 0
		.amdhsa_exception_fp_denorm_src 0
		.amdhsa_exception_fp_ieee_div_zero 0
		.amdhsa_exception_fp_ieee_overflow 0
		.amdhsa_exception_fp_ieee_underflow 0
		.amdhsa_exception_fp_ieee_inexact 0
		.amdhsa_exception_int_div_zero 0
	.end_amdhsa_kernel
	.section	.text._ZN2at6native41tensor_kernel_scan_outer_dim_with_indicesIhSt10less_equalIhEEEvPKT_PS4_PljjjS4_T0_,"axG",@progbits,_ZN2at6native41tensor_kernel_scan_outer_dim_with_indicesIhSt10less_equalIhEEEvPKT_PS4_PljjjS4_T0_,comdat
.Lfunc_end21:
	.size	_ZN2at6native41tensor_kernel_scan_outer_dim_with_indicesIhSt10less_equalIhEEEvPKT_PS4_PljjjS4_T0_, .Lfunc_end21-_ZN2at6native41tensor_kernel_scan_outer_dim_with_indicesIhSt10less_equalIhEEEvPKT_PS4_PljjjS4_T0_
                                        ; -- End function
	.set _ZN2at6native41tensor_kernel_scan_outer_dim_with_indicesIhSt10less_equalIhEEEvPKT_PS4_PljjjS4_T0_.num_vgpr, 13
	.set _ZN2at6native41tensor_kernel_scan_outer_dim_with_indicesIhSt10less_equalIhEEEvPKT_PS4_PljjjS4_T0_.num_agpr, 0
	.set _ZN2at6native41tensor_kernel_scan_outer_dim_with_indicesIhSt10less_equalIhEEEvPKT_PS4_PljjjS4_T0_.numbered_sgpr, 30
	.set _ZN2at6native41tensor_kernel_scan_outer_dim_with_indicesIhSt10less_equalIhEEEvPKT_PS4_PljjjS4_T0_.num_named_barrier, 0
	.set _ZN2at6native41tensor_kernel_scan_outer_dim_with_indicesIhSt10less_equalIhEEEvPKT_PS4_PljjjS4_T0_.private_seg_size, 0
	.set _ZN2at6native41tensor_kernel_scan_outer_dim_with_indicesIhSt10less_equalIhEEEvPKT_PS4_PljjjS4_T0_.uses_vcc, 1
	.set _ZN2at6native41tensor_kernel_scan_outer_dim_with_indicesIhSt10less_equalIhEEEvPKT_PS4_PljjjS4_T0_.uses_flat_scratch, 0
	.set _ZN2at6native41tensor_kernel_scan_outer_dim_with_indicesIhSt10less_equalIhEEEvPKT_PS4_PljjjS4_T0_.has_dyn_sized_stack, 0
	.set _ZN2at6native41tensor_kernel_scan_outer_dim_with_indicesIhSt10less_equalIhEEEvPKT_PS4_PljjjS4_T0_.has_recursion, 0
	.set _ZN2at6native41tensor_kernel_scan_outer_dim_with_indicesIhSt10less_equalIhEEEvPKT_PS4_PljjjS4_T0_.has_indirect_call, 0
	.section	.AMDGPU.csdata,"",@progbits
; Kernel info:
; codeLenInByte = 464
; TotalNumSgprs: 32
; NumVgprs: 13
; ScratchSize: 0
; MemoryBound: 0
; FloatMode: 240
; IeeeMode: 1
; LDSByteSize: 0 bytes/workgroup (compile time only)
; SGPRBlocks: 0
; VGPRBlocks: 1
; NumSGPRsForWavesPerEU: 32
; NumVGPRsForWavesPerEU: 13
; Occupancy: 16
; WaveLimiterHint : 0
; COMPUTE_PGM_RSRC2:SCRATCH_EN: 0
; COMPUTE_PGM_RSRC2:USER_SGPR: 6
; COMPUTE_PGM_RSRC2:TRAP_HANDLER: 0
; COMPUTE_PGM_RSRC2:TGID_X_EN: 1
; COMPUTE_PGM_RSRC2:TGID_Y_EN: 1
; COMPUTE_PGM_RSRC2:TGID_Z_EN: 0
; COMPUTE_PGM_RSRC2:TIDIG_COMP_CNT: 0
	.section	.text._ZN2at6native45tensor_kernel_scan_innermost_dim_with_indicesIaSt10less_equalIaEEEvPKT_PS4_PliijjS4_T0_,"axG",@progbits,_ZN2at6native45tensor_kernel_scan_innermost_dim_with_indicesIaSt10less_equalIaEEEvPKT_PS4_PliijjS4_T0_,comdat
	.protected	_ZN2at6native45tensor_kernel_scan_innermost_dim_with_indicesIaSt10less_equalIaEEEvPKT_PS4_PliijjS4_T0_ ; -- Begin function _ZN2at6native45tensor_kernel_scan_innermost_dim_with_indicesIaSt10less_equalIaEEEvPKT_PS4_PliijjS4_T0_
	.globl	_ZN2at6native45tensor_kernel_scan_innermost_dim_with_indicesIaSt10less_equalIaEEEvPKT_PS4_PliijjS4_T0_
	.p2align	8
	.type	_ZN2at6native45tensor_kernel_scan_innermost_dim_with_indicesIaSt10less_equalIaEEEvPKT_PS4_PliijjS4_T0_,@function
_ZN2at6native45tensor_kernel_scan_innermost_dim_with_indicesIaSt10less_equalIaEEEvPKT_PS4_PliijjS4_T0_: ; @_ZN2at6native45tensor_kernel_scan_innermost_dim_with_indicesIaSt10less_equalIaEEEvPKT_PS4_PliijjS4_T0_
; %bb.0:
	s_clause 0x1
	s_load_dword s2, s[4:5], 0x3c
	s_load_dwordx4 s[8:11], s[4:5], 0x18
	s_add_u32 s0, s4, 48
	s_addc_u32 s1, s5, 0
	s_waitcnt lgkmcnt(0)
	s_lshr_b32 s2, s2, 16
	s_mul_i32 s3, s6, s2
	s_cmp_ge_i32 s3, s8
	s_cbranch_scc1 .LBB22_31
; %bb.1:
	s_lshl_b32 s6, 2, s11
	s_clause 0x2
	s_load_dword s7, s[4:5], 0x28
	s_load_dwordx4 s[12:15], s[4:5], 0x0
	s_load_dwordx2 s[4:5], s[4:5], 0x10
	v_mul_lo_u32 v2, s6, v1
	s_load_dword s1, s[0:1], 0x0
	s_lshl_b32 s16, s10, 1
	s_lshl_b32 s10, 1, s11
	s_cmp_gt_i32 s9, 0
	v_add_nc_u32_e32 v8, s10, v0
	s_cselect_b32 s11, -1, 0
	v_cmp_eq_u32_e64 s0, 0, v0
	v_lshlrev_b32_e32 v3, 3, v2
	v_add_nc_u32_e32 v9, 0, v2
	v_add3_u32 v10, 0, s16, v3
	v_add_nc_u32_e32 v2, s10, v9
	s_add_i32 s16, s6, -1
	v_add_nc_u32_e32 v12, v9, v0
	v_add_nc_u32_e32 v13, v9, v8
	v_lshl_add_u32 v11, v0, 3, v10
	v_lshl_add_u32 v14, s16, 3, v10
	v_add_nc_u32_e32 v15, v2, v0
	v_add_nc_u32_e32 v17, s16, v9
	s_waitcnt lgkmcnt(0)
	s_mul_i32 s16, s1, s2
	v_lshl_add_u32 v16, s10, 3, v11
	s_branch .LBB22_3
.LBB22_2:                               ;   in Loop: Header=BB22_3 Depth=1
	s_add_i32 s3, s16, s3
	s_cmp_ge_i32 s3, s8
	s_cbranch_scc1 .LBB22_31
.LBB22_3:                               ; =>This Loop Header: Depth=1
                                        ;     Child Loop BB22_6 Depth 2
                                        ;       Child Loop BB22_21 Depth 3
	s_andn2_b32 vcc_lo, exec_lo, s11
	s_cbranch_vccnz .LBB22_2
; %bb.4:                                ;   in Loop: Header=BB22_3 Depth=1
	v_add_nc_u32_e32 v4, s3, v1
	v_mov_b32_e32 v6, 0
	v_mov_b32_e32 v7, 0
	;; [unrolled: 1-line block ×3, first 2 shown]
	s_mov_b32 s17, 0
	v_mul_lo_u32 v2, v4, s9
	v_cmp_gt_i32_e32 vcc_lo, s8, v4
	v_cmp_le_i32_e64 s1, s8, v4
	v_ashrrev_i32_e32 v3, 31, v2
	v_add_co_u32 v18, s2, s12, v2
	v_lshlrev_b64 v[4:5], 3, v[2:3]
	v_add_co_ci_u32_e64 v19, null, s13, v3, s2
	v_add_co_u32 v20, s2, s14, v2
	v_add_co_ci_u32_e64 v21, null, s15, v3, s2
	v_add_co_u32 v22, s2, s4, v4
	v_add_co_ci_u32_e64 v23, null, s5, v5, s2
	s_branch .LBB22_6
.LBB22_5:                               ;   in Loop: Header=BB22_6 Depth=2
	s_or_b32 exec_lo, exec_lo, s18
	ds_read_u8 v24, v17
	ds_read_b64 v[6:7], v14
	s_add_i32 s17, s17, s6
	s_waitcnt lgkmcnt(0)
	s_waitcnt_vscnt null, 0x0
	s_cmp_ge_i32 s17, s9
	s_barrier
	buffer_gl0_inv
	s_cbranch_scc1 .LBB22_2
.LBB22_6:                               ;   Parent Loop BB22_3 Depth=1
                                        ; =>  This Loop Header: Depth=2
                                        ;       Child Loop BB22_21 Depth 3
	v_add_nc_u32_e32 v4, s17, v0
	v_add_nc_u32_e32 v2, s17, v8
	s_and_saveexec_b32 s18, vcc_lo
	s_cbranch_execz .LBB22_18
; %bb.7:                                ;   in Loop: Header=BB22_6 Depth=2
	v_cmp_le_i32_e64 s2, s9, v4
	s_and_saveexec_b32 s19, s2
	s_xor_b32 s2, exec_lo, s19
; %bb.8:                                ;   in Loop: Header=BB22_6 Depth=2
	v_mov_b32_e32 v3, s7
	ds_write_b8 v12, v3
; %bb.9:                                ;   in Loop: Header=BB22_6 Depth=2
	s_andn2_saveexec_b32 s19, s2
	s_cbranch_execz .LBB22_11
; %bb.10:                               ;   in Loop: Header=BB22_6 Depth=2
	v_ashrrev_i32_e32 v5, 31, v4
	v_add_co_u32 v25, s2, v18, v4
	v_add_co_ci_u32_e64 v26, null, v19, v5, s2
	global_load_ubyte v3, v[25:26], off
	s_waitcnt vmcnt(0)
	ds_write_b8 v12, v3
	ds_write_b64 v11, v[4:5]
.LBB22_11:                              ;   in Loop: Header=BB22_6 Depth=2
	s_or_b32 exec_lo, exec_lo, s19
	v_cmp_le_i32_e64 s2, s9, v2
	s_and_saveexec_b32 s19, s2
	s_xor_b32 s2, exec_lo, s19
	s_cbranch_execnz .LBB22_14
; %bb.12:                               ;   in Loop: Header=BB22_6 Depth=2
	s_andn2_saveexec_b32 s19, s2
	s_cbranch_execnz .LBB22_15
.LBB22_13:                              ;   in Loop: Header=BB22_6 Depth=2
	s_or_b32 exec_lo, exec_lo, s19
	s_and_b32 exec_lo, exec_lo, s0
	s_cbranch_execnz .LBB22_16
	s_branch .LBB22_18
.LBB22_14:                              ;   in Loop: Header=BB22_6 Depth=2
	v_mov_b32_e32 v3, s7
	ds_write_b8 v15, v3
	s_andn2_saveexec_b32 s19, s2
	s_cbranch_execz .LBB22_13
.LBB22_15:                              ;   in Loop: Header=BB22_6 Depth=2
	v_ashrrev_i32_e32 v3, 31, v2
	v_add_co_u32 v25, s2, v18, v2
	v_add_co_ci_u32_e64 v26, null, v19, v3, s2
	global_load_ubyte v5, v[25:26], off
	s_waitcnt vmcnt(0)
	ds_write_b8 v13, v5
	ds_write_b64 v16, v[2:3]
	s_or_b32 exec_lo, exec_lo, s19
	s_and_b32 exec_lo, exec_lo, s0
	s_cbranch_execz .LBB22_18
.LBB22_16:                              ;   in Loop: Header=BB22_6 Depth=2
	ds_read_i8 v3, v9
	s_waitcnt lgkmcnt(0)
	v_cmp_gt_i16_sdwa s2, v3, sext(v24) src0_sel:DWORD src1_sel:BYTE_0
	s_and_b32 exec_lo, exec_lo, s2
	s_cbranch_execz .LBB22_18
; %bb.17:                               ;   in Loop: Header=BB22_6 Depth=2
	ds_write_b8 v9, v24
	ds_write_b64 v10, v[6:7]
.LBB22_18:                              ;   in Loop: Header=BB22_6 Depth=2
	s_or_b32 exec_lo, exec_lo, s18
	v_mov_b32_e32 v3, 1
	s_mov_b32 s18, 0
	s_waitcnt lgkmcnt(0)
	s_barrier
	buffer_gl0_inv
	s_inst_prefetch 0x1
	s_branch .LBB22_21
	.p2align	6
.LBB22_19:                              ;   in Loop: Header=BB22_21 Depth=3
	s_or_b32 exec_lo, exec_lo, s20
	v_mov_b32_e32 v3, v5
.LBB22_20:                              ;   in Loop: Header=BB22_21 Depth=3
	s_or_b32 exec_lo, exec_lo, s19
	v_cmp_lt_u32_e64 s2, s10, v3
	s_waitcnt lgkmcnt(0)
	s_barrier
	buffer_gl0_inv
	s_or_b32 s18, s2, s18
	s_andn2_b32 exec_lo, exec_lo, s18
	s_cbranch_execz .LBB22_26
.LBB22_21:                              ;   Parent Loop BB22_3 Depth=1
                                        ;     Parent Loop BB22_6 Depth=2
                                        ; =>    This Inner Loop Header: Depth=3
	v_lshlrev_b32_e32 v5, 1, v3
	s_and_saveexec_b32 s2, s1
	s_xor_b32 s2, exec_lo, s2
; %bb.22:                               ;   in Loop: Header=BB22_21 Depth=3
	v_lshlrev_b32_e32 v3, 1, v3
                                        ; implicit-def: $vgpr5
; %bb.23:                               ;   in Loop: Header=BB22_21 Depth=3
	s_andn2_saveexec_b32 s19, s2
	s_cbranch_execz .LBB22_20
; %bb.24:                               ;   in Loop: Header=BB22_21 Depth=3
	v_ffbl_b32_e32 v6, v3
	v_add_nc_u32_e32 v7, -1, v3
	s_mov_b32 s20, exec_lo
	v_lshrrev_b32_e32 v6, v6, v0
	v_mad_u64_u32 v[24:25], null, v5, v6, v[3:4]
	v_and_b32_e32 v3, v7, v0
	v_add_nc_u32_e32 v6, -1, v24
	v_add_nc_u32_e32 v3, v24, v3
	v_add_nc_u32_e32 v24, v9, v6
	;; [unrolled: 1-line block ×3, first 2 shown]
	ds_read_i8 v24, v24
	ds_read_i8 v25, v7
	s_waitcnt lgkmcnt(0)
	v_cmpx_gt_i16_e64 v25, v24
	s_cbranch_execz .LBB22_19
; %bb.25:                               ;   in Loop: Header=BB22_21 Depth=3
	v_lshl_add_u32 v6, v6, 3, v10
	v_lshl_add_u32 v3, v3, 3, v10
	ds_read_b64 v[25:26], v6
	ds_write_b8 v7, v24
	s_waitcnt lgkmcnt(1)
	ds_write_b64 v3, v[25:26]
	s_branch .LBB22_19
.LBB22_26:                              ;   in Loop: Header=BB22_6 Depth=2
	s_inst_prefetch 0x2
	s_or_b32 exec_lo, exec_lo, s18
	s_and_saveexec_b32 s18, vcc_lo
	s_cbranch_execz .LBB22_5
; %bb.27:                               ;   in Loop: Header=BB22_6 Depth=2
	s_mov_b32 s19, exec_lo
	v_cmpx_gt_i32_e64 s9, v4
	s_cbranch_execz .LBB22_29
; %bb.28:                               ;   in Loop: Header=BB22_6 Depth=2
	ds_read_u8 v26, v12
	ds_read_b64 v[6:7], v11
	v_ashrrev_i32_e32 v5, 31, v4
	v_add_co_u32 v3, s2, v20, v4
	v_lshlrev_b64 v[24:25], 3, v[4:5]
	v_add_co_ci_u32_e64 v4, null, v21, v5, s2
	v_add_co_u32 v24, s2, v22, v24
	v_add_co_ci_u32_e64 v25, null, v23, v25, s2
	s_waitcnt lgkmcnt(1)
	global_store_byte v[3:4], v26, off
	s_waitcnt lgkmcnt(0)
	global_store_dwordx2 v[24:25], v[6:7], off
.LBB22_29:                              ;   in Loop: Header=BB22_6 Depth=2
	s_or_b32 exec_lo, exec_lo, s19
	v_cmp_gt_i32_e64 s2, s9, v2
	s_and_b32 exec_lo, exec_lo, s2
	s_cbranch_execz .LBB22_5
; %bb.30:                               ;   in Loop: Header=BB22_6 Depth=2
	ds_read_u8 v24, v13
	ds_read_b64 v[4:5], v16
	v_ashrrev_i32_e32 v3, 31, v2
	v_lshlrev_b64 v[6:7], 3, v[2:3]
	v_add_co_u32 v2, s2, v20, v2
	v_add_co_ci_u32_e64 v3, null, v21, v3, s2
	v_add_co_u32 v6, s2, v22, v6
	v_add_co_ci_u32_e64 v7, null, v23, v7, s2
	s_waitcnt lgkmcnt(1)
	global_store_byte v[2:3], v24, off
	s_waitcnt lgkmcnt(0)
	global_store_dwordx2 v[6:7], v[4:5], off
	s_branch .LBB22_5
.LBB22_31:
	s_endpgm
	.section	.rodata,"a",@progbits
	.p2align	6, 0x0
	.amdhsa_kernel _ZN2at6native45tensor_kernel_scan_innermost_dim_with_indicesIaSt10less_equalIaEEEvPKT_PS4_PliijjS4_T0_
		.amdhsa_group_segment_fixed_size 0
		.amdhsa_private_segment_fixed_size 0
		.amdhsa_kernarg_size 304
		.amdhsa_user_sgpr_count 6
		.amdhsa_user_sgpr_private_segment_buffer 1
		.amdhsa_user_sgpr_dispatch_ptr 0
		.amdhsa_user_sgpr_queue_ptr 0
		.amdhsa_user_sgpr_kernarg_segment_ptr 1
		.amdhsa_user_sgpr_dispatch_id 0
		.amdhsa_user_sgpr_flat_scratch_init 0
		.amdhsa_user_sgpr_private_segment_size 0
		.amdhsa_wavefront_size32 1
		.amdhsa_uses_dynamic_stack 0
		.amdhsa_system_sgpr_private_segment_wavefront_offset 0
		.amdhsa_system_sgpr_workgroup_id_x 1
		.amdhsa_system_sgpr_workgroup_id_y 0
		.amdhsa_system_sgpr_workgroup_id_z 0
		.amdhsa_system_sgpr_workgroup_info 0
		.amdhsa_system_vgpr_workitem_id 1
		.amdhsa_next_free_vgpr 27
		.amdhsa_next_free_sgpr 21
		.amdhsa_reserve_vcc 1
		.amdhsa_reserve_flat_scratch 0
		.amdhsa_float_round_mode_32 0
		.amdhsa_float_round_mode_16_64 0
		.amdhsa_float_denorm_mode_32 3
		.amdhsa_float_denorm_mode_16_64 3
		.amdhsa_dx10_clamp 1
		.amdhsa_ieee_mode 1
		.amdhsa_fp16_overflow 0
		.amdhsa_workgroup_processor_mode 1
		.amdhsa_memory_ordered 1
		.amdhsa_forward_progress 1
		.amdhsa_shared_vgpr_count 0
		.amdhsa_exception_fp_ieee_invalid_op 0
		.amdhsa_exception_fp_denorm_src 0
		.amdhsa_exception_fp_ieee_div_zero 0
		.amdhsa_exception_fp_ieee_overflow 0
		.amdhsa_exception_fp_ieee_underflow 0
		.amdhsa_exception_fp_ieee_inexact 0
		.amdhsa_exception_int_div_zero 0
	.end_amdhsa_kernel
	.section	.text._ZN2at6native45tensor_kernel_scan_innermost_dim_with_indicesIaSt10less_equalIaEEEvPKT_PS4_PliijjS4_T0_,"axG",@progbits,_ZN2at6native45tensor_kernel_scan_innermost_dim_with_indicesIaSt10less_equalIaEEEvPKT_PS4_PliijjS4_T0_,comdat
.Lfunc_end22:
	.size	_ZN2at6native45tensor_kernel_scan_innermost_dim_with_indicesIaSt10less_equalIaEEEvPKT_PS4_PliijjS4_T0_, .Lfunc_end22-_ZN2at6native45tensor_kernel_scan_innermost_dim_with_indicesIaSt10less_equalIaEEEvPKT_PS4_PliijjS4_T0_
                                        ; -- End function
	.set _ZN2at6native45tensor_kernel_scan_innermost_dim_with_indicesIaSt10less_equalIaEEEvPKT_PS4_PliijjS4_T0_.num_vgpr, 27
	.set _ZN2at6native45tensor_kernel_scan_innermost_dim_with_indicesIaSt10less_equalIaEEEvPKT_PS4_PliijjS4_T0_.num_agpr, 0
	.set _ZN2at6native45tensor_kernel_scan_innermost_dim_with_indicesIaSt10less_equalIaEEEvPKT_PS4_PliijjS4_T0_.numbered_sgpr, 21
	.set _ZN2at6native45tensor_kernel_scan_innermost_dim_with_indicesIaSt10less_equalIaEEEvPKT_PS4_PliijjS4_T0_.num_named_barrier, 0
	.set _ZN2at6native45tensor_kernel_scan_innermost_dim_with_indicesIaSt10less_equalIaEEEvPKT_PS4_PliijjS4_T0_.private_seg_size, 0
	.set _ZN2at6native45tensor_kernel_scan_innermost_dim_with_indicesIaSt10less_equalIaEEEvPKT_PS4_PliijjS4_T0_.uses_vcc, 1
	.set _ZN2at6native45tensor_kernel_scan_innermost_dim_with_indicesIaSt10less_equalIaEEEvPKT_PS4_PliijjS4_T0_.uses_flat_scratch, 0
	.set _ZN2at6native45tensor_kernel_scan_innermost_dim_with_indicesIaSt10less_equalIaEEEvPKT_PS4_PliijjS4_T0_.has_dyn_sized_stack, 0
	.set _ZN2at6native45tensor_kernel_scan_innermost_dim_with_indicesIaSt10less_equalIaEEEvPKT_PS4_PliijjS4_T0_.has_recursion, 0
	.set _ZN2at6native45tensor_kernel_scan_innermost_dim_with_indicesIaSt10less_equalIaEEEvPKT_PS4_PliijjS4_T0_.has_indirect_call, 0
	.section	.AMDGPU.csdata,"",@progbits
; Kernel info:
; codeLenInByte = 1128
; TotalNumSgprs: 23
; NumVgprs: 27
; ScratchSize: 0
; MemoryBound: 0
; FloatMode: 240
; IeeeMode: 1
; LDSByteSize: 0 bytes/workgroup (compile time only)
; SGPRBlocks: 0
; VGPRBlocks: 3
; NumSGPRsForWavesPerEU: 23
; NumVGPRsForWavesPerEU: 27
; Occupancy: 16
; WaveLimiterHint : 0
; COMPUTE_PGM_RSRC2:SCRATCH_EN: 0
; COMPUTE_PGM_RSRC2:USER_SGPR: 6
; COMPUTE_PGM_RSRC2:TRAP_HANDLER: 0
; COMPUTE_PGM_RSRC2:TGID_X_EN: 1
; COMPUTE_PGM_RSRC2:TGID_Y_EN: 0
; COMPUTE_PGM_RSRC2:TGID_Z_EN: 0
; COMPUTE_PGM_RSRC2:TIDIG_COMP_CNT: 1
	.section	.text._ZN2at6native41tensor_kernel_scan_outer_dim_with_indicesIaSt10less_equalIaEEEvPKT_PS4_PljjjS4_T0_,"axG",@progbits,_ZN2at6native41tensor_kernel_scan_outer_dim_with_indicesIaSt10less_equalIaEEEvPKT_PS4_PljjjS4_T0_,comdat
	.protected	_ZN2at6native41tensor_kernel_scan_outer_dim_with_indicesIaSt10less_equalIaEEEvPKT_PS4_PljjjS4_T0_ ; -- Begin function _ZN2at6native41tensor_kernel_scan_outer_dim_with_indicesIaSt10less_equalIaEEEvPKT_PS4_PljjjS4_T0_
	.globl	_ZN2at6native41tensor_kernel_scan_outer_dim_with_indicesIaSt10less_equalIaEEEvPKT_PS4_PljjjS4_T0_
	.p2align	8
	.type	_ZN2at6native41tensor_kernel_scan_outer_dim_with_indicesIaSt10less_equalIaEEEvPKT_PS4_PljjjS4_T0_,@function
_ZN2at6native41tensor_kernel_scan_outer_dim_with_indicesIaSt10less_equalIaEEEvPKT_PS4_PljjjS4_T0_: ; @_ZN2at6native41tensor_kernel_scan_outer_dim_with_indicesIaSt10less_equalIaEEEvPKT_PS4_PljjjS4_T0_
; %bb.0:
	s_load_dwordx4 s[8:11], s[4:5], 0x18
	s_waitcnt lgkmcnt(0)
	s_cmp_ge_u32 s6, s8
	s_cbranch_scc1 .LBB23_9
; %bb.1:
	s_clause 0x3
	s_load_dword s0, s[4:5], 0x34
	s_load_dword s1, s[4:5], 0x28
	s_load_dwordx4 s[12:15], s[4:5], 0x0
	s_load_dwordx2 s[2:3], s[4:5], 0x10
	s_add_u32 s4, s4, 40
	s_addc_u32 s5, s5, 0
	s_mov_b32 s17, 0
	v_mov_b32_e32 v2, 0
	s_mov_b32 s18, s9
	s_mul_i32 s16, s6, s10
	s_mov_b32 s19, s17
	s_mul_i32 s16, s16, s9
	s_waitcnt lgkmcnt(0)
	s_and_b32 s24, s0, 0xffff
	s_cmp_lg_u32 s10, 0
	v_mad_u64_u32 v[0:1], null, s7, s24, v[0:1]
	s_mul_i32 s25, s1, s10
	s_cselect_b32 s7, -1, 0
	s_mul_i32 s25, s25, s9
	s_lshl_b64 s[20:21], s[18:19], 3
	v_cmp_gt_u32_e64 s0, s9, v0
	s_branch .LBB23_3
.LBB23_2:                               ;   in Loop: Header=BB23_3 Depth=1
	s_or_b32 exec_lo, exec_lo, s19
	s_add_i32 s6, s1, s6
	s_add_i32 s16, s16, s25
	s_cmp_ge_u32 s6, s8
	s_cbranch_scc1 .LBB23_9
.LBB23_3:                               ; =>This Loop Header: Depth=1
                                        ;     Child Loop BB23_6 Depth 2
                                        ;       Child Loop BB23_8 Depth 3
	s_and_saveexec_b32 s19, s0
	s_cbranch_execz .LBB23_2
; %bb.4:                                ;   in Loop: Header=BB23_3 Depth=1
	s_load_dword s28, s[4:5], 0x4
	s_lshl_b64 s[22:23], s[16:17], 3
	v_mov_b32_e32 v1, v0
	s_add_u32 s26, s2, s22
	s_addc_u32 s27, s3, s23
	s_mov_b32 s29, 0
	s_waitcnt lgkmcnt(0)
	s_mul_i32 s28, s28, s24
	s_branch .LBB23_6
.LBB23_5:                               ;   in Loop: Header=BB23_6 Depth=2
	s_inst_prefetch 0x2
	v_add_nc_u32_e32 v1, s28, v1
	v_cmp_le_u32_e32 vcc_lo, s9, v1
	s_or_b32 s29, vcc_lo, s29
	s_andn2_b32 exec_lo, exec_lo, s29
	s_cbranch_execz .LBB23_2
.LBB23_6:                               ;   Parent Loop BB23_3 Depth=1
                                        ; =>  This Loop Header: Depth=2
                                        ;       Child Loop BB23_8 Depth 3
	s_andn2_b32 vcc_lo, exec_lo, s7
	s_cbranch_vccnz .LBB23_5
; %bb.7:                                ;   in Loop: Header=BB23_6 Depth=2
	v_lshlrev_b64 v[3:4], 3, v[1:2]
	v_add_co_u32 v7, s22, s16, v1
	v_mov_b32_e32 v5, 0
	v_add_co_ci_u32_e64 v8, null, 0, 0, s22
	v_add_co_u32 v3, vcc_lo, s26, v3
	v_add_co_ci_u32_e64 v4, null, s27, v4, vcc_lo
	v_mov_b32_e32 v6, 0
	v_mov_b32_e32 v9, s11
	s_mov_b64 s[22:23], 0
	s_inst_prefetch 0x1
	.p2align	6
.LBB23_8:                               ;   Parent Loop BB23_3 Depth=1
                                        ;     Parent Loop BB23_6 Depth=2
                                        ; =>    This Inner Loop Header: Depth=3
	v_add_co_u32 v10, vcc_lo, s12, v7
	v_add_co_ci_u32_e64 v11, null, s13, v8, vcc_lo
	v_bfe_i32 v9, v9, 0, 8
	global_load_sbyte v12, v[10:11], off
	v_add_co_u32 v10, vcc_lo, s14, v7
	v_add_co_ci_u32_e64 v11, null, s15, v8, vcc_lo
	v_add_co_u32 v7, vcc_lo, v7, s18
	v_add_co_ci_u32_e64 v8, null, 0, v8, vcc_lo
	s_waitcnt vmcnt(0)
	v_cmp_gt_i16_e32 vcc_lo, v12, v9
	v_min_i16 v9, v12, v9
	v_cndmask_b32_e32 v6, s23, v6, vcc_lo
	v_cndmask_b32_e32 v5, s22, v5, vcc_lo
	global_store_byte v[10:11], v9, off
	s_add_u32 s22, s22, 1
	s_addc_u32 s23, s23, 0
	s_cmp_eq_u32 s10, s22
	global_store_dwordx2 v[3:4], v[5:6], off
	v_add_co_u32 v3, vcc_lo, v3, s20
	v_add_co_ci_u32_e64 v4, null, s21, v4, vcc_lo
	s_cbranch_scc0 .LBB23_8
	s_branch .LBB23_5
.LBB23_9:
	s_endpgm
	.section	.rodata,"a",@progbits
	.p2align	6, 0x0
	.amdhsa_kernel _ZN2at6native41tensor_kernel_scan_outer_dim_with_indicesIaSt10less_equalIaEEEvPKT_PS4_PljjjS4_T0_
		.amdhsa_group_segment_fixed_size 0
		.amdhsa_private_segment_fixed_size 0
		.amdhsa_kernarg_size 296
		.amdhsa_user_sgpr_count 6
		.amdhsa_user_sgpr_private_segment_buffer 1
		.amdhsa_user_sgpr_dispatch_ptr 0
		.amdhsa_user_sgpr_queue_ptr 0
		.amdhsa_user_sgpr_kernarg_segment_ptr 1
		.amdhsa_user_sgpr_dispatch_id 0
		.amdhsa_user_sgpr_flat_scratch_init 0
		.amdhsa_user_sgpr_private_segment_size 0
		.amdhsa_wavefront_size32 1
		.amdhsa_uses_dynamic_stack 0
		.amdhsa_system_sgpr_private_segment_wavefront_offset 0
		.amdhsa_system_sgpr_workgroup_id_x 1
		.amdhsa_system_sgpr_workgroup_id_y 1
		.amdhsa_system_sgpr_workgroup_id_z 0
		.amdhsa_system_sgpr_workgroup_info 0
		.amdhsa_system_vgpr_workitem_id 0
		.amdhsa_next_free_vgpr 13
		.amdhsa_next_free_sgpr 30
		.amdhsa_reserve_vcc 1
		.amdhsa_reserve_flat_scratch 0
		.amdhsa_float_round_mode_32 0
		.amdhsa_float_round_mode_16_64 0
		.amdhsa_float_denorm_mode_32 3
		.amdhsa_float_denorm_mode_16_64 3
		.amdhsa_dx10_clamp 1
		.amdhsa_ieee_mode 1
		.amdhsa_fp16_overflow 0
		.amdhsa_workgroup_processor_mode 1
		.amdhsa_memory_ordered 1
		.amdhsa_forward_progress 1
		.amdhsa_shared_vgpr_count 0
		.amdhsa_exception_fp_ieee_invalid_op 0
		.amdhsa_exception_fp_denorm_src 0
		.amdhsa_exception_fp_ieee_div_zero 0
		.amdhsa_exception_fp_ieee_overflow 0
		.amdhsa_exception_fp_ieee_underflow 0
		.amdhsa_exception_fp_ieee_inexact 0
		.amdhsa_exception_int_div_zero 0
	.end_amdhsa_kernel
	.section	.text._ZN2at6native41tensor_kernel_scan_outer_dim_with_indicesIaSt10less_equalIaEEEvPKT_PS4_PljjjS4_T0_,"axG",@progbits,_ZN2at6native41tensor_kernel_scan_outer_dim_with_indicesIaSt10less_equalIaEEEvPKT_PS4_PljjjS4_T0_,comdat
.Lfunc_end23:
	.size	_ZN2at6native41tensor_kernel_scan_outer_dim_with_indicesIaSt10less_equalIaEEEvPKT_PS4_PljjjS4_T0_, .Lfunc_end23-_ZN2at6native41tensor_kernel_scan_outer_dim_with_indicesIaSt10less_equalIaEEEvPKT_PS4_PljjjS4_T0_
                                        ; -- End function
	.set _ZN2at6native41tensor_kernel_scan_outer_dim_with_indicesIaSt10less_equalIaEEEvPKT_PS4_PljjjS4_T0_.num_vgpr, 13
	.set _ZN2at6native41tensor_kernel_scan_outer_dim_with_indicesIaSt10less_equalIaEEEvPKT_PS4_PljjjS4_T0_.num_agpr, 0
	.set _ZN2at6native41tensor_kernel_scan_outer_dim_with_indicesIaSt10less_equalIaEEEvPKT_PS4_PljjjS4_T0_.numbered_sgpr, 30
	.set _ZN2at6native41tensor_kernel_scan_outer_dim_with_indicesIaSt10less_equalIaEEEvPKT_PS4_PljjjS4_T0_.num_named_barrier, 0
	.set _ZN2at6native41tensor_kernel_scan_outer_dim_with_indicesIaSt10less_equalIaEEEvPKT_PS4_PljjjS4_T0_.private_seg_size, 0
	.set _ZN2at6native41tensor_kernel_scan_outer_dim_with_indicesIaSt10less_equalIaEEEvPKT_PS4_PljjjS4_T0_.uses_vcc, 1
	.set _ZN2at6native41tensor_kernel_scan_outer_dim_with_indicesIaSt10less_equalIaEEEvPKT_PS4_PljjjS4_T0_.uses_flat_scratch, 0
	.set _ZN2at6native41tensor_kernel_scan_outer_dim_with_indicesIaSt10less_equalIaEEEvPKT_PS4_PljjjS4_T0_.has_dyn_sized_stack, 0
	.set _ZN2at6native41tensor_kernel_scan_outer_dim_with_indicesIaSt10less_equalIaEEEvPKT_PS4_PljjjS4_T0_.has_recursion, 0
	.set _ZN2at6native41tensor_kernel_scan_outer_dim_with_indicesIaSt10less_equalIaEEEvPKT_PS4_PljjjS4_T0_.has_indirect_call, 0
	.section	.AMDGPU.csdata,"",@progbits
; Kernel info:
; codeLenInByte = 464
; TotalNumSgprs: 32
; NumVgprs: 13
; ScratchSize: 0
; MemoryBound: 0
; FloatMode: 240
; IeeeMode: 1
; LDSByteSize: 0 bytes/workgroup (compile time only)
; SGPRBlocks: 0
; VGPRBlocks: 1
; NumSGPRsForWavesPerEU: 32
; NumVGPRsForWavesPerEU: 13
; Occupancy: 16
; WaveLimiterHint : 0
; COMPUTE_PGM_RSRC2:SCRATCH_EN: 0
; COMPUTE_PGM_RSRC2:USER_SGPR: 6
; COMPUTE_PGM_RSRC2:TRAP_HANDLER: 0
; COMPUTE_PGM_RSRC2:TGID_X_EN: 1
; COMPUTE_PGM_RSRC2:TGID_Y_EN: 1
; COMPUTE_PGM_RSRC2:TGID_Z_EN: 0
; COMPUTE_PGM_RSRC2:TIDIG_COMP_CNT: 0
	.section	.text._ZN2at6native45tensor_kernel_scan_innermost_dim_with_indicesIiSt10less_equalIiEEEvPKT_PS4_PliijjS4_T0_,"axG",@progbits,_ZN2at6native45tensor_kernel_scan_innermost_dim_with_indicesIiSt10less_equalIiEEEvPKT_PS4_PliijjS4_T0_,comdat
	.protected	_ZN2at6native45tensor_kernel_scan_innermost_dim_with_indicesIiSt10less_equalIiEEEvPKT_PS4_PliijjS4_T0_ ; -- Begin function _ZN2at6native45tensor_kernel_scan_innermost_dim_with_indicesIiSt10less_equalIiEEEvPKT_PS4_PliijjS4_T0_
	.globl	_ZN2at6native45tensor_kernel_scan_innermost_dim_with_indicesIiSt10less_equalIiEEEvPKT_PS4_PliijjS4_T0_
	.p2align	8
	.type	_ZN2at6native45tensor_kernel_scan_innermost_dim_with_indicesIiSt10less_equalIiEEEvPKT_PS4_PliijjS4_T0_,@function
_ZN2at6native45tensor_kernel_scan_innermost_dim_with_indicesIiSt10less_equalIiEEEvPKT_PS4_PliijjS4_T0_: ; @_ZN2at6native45tensor_kernel_scan_innermost_dim_with_indicesIiSt10less_equalIiEEEvPKT_PS4_PliijjS4_T0_
; %bb.0:
	s_clause 0x1
	s_load_dword s2, s[4:5], 0x3c
	s_load_dwordx4 s[8:11], s[4:5], 0x18
	s_add_u32 s0, s4, 48
	s_addc_u32 s1, s5, 0
	s_waitcnt lgkmcnt(0)
	s_lshr_b32 s2, s2, 16
	s_mul_i32 s3, s6, s2
	s_cmp_ge_i32 s3, s8
	s_cbranch_scc1 .LBB24_31
; %bb.1:
	s_lshl_b32 s6, 2, s11
	s_clause 0x2
	s_load_dword s7, s[4:5], 0x28
	s_load_dwordx4 s[12:15], s[4:5], 0x0
	s_load_dwordx2 s[4:5], s[4:5], 0x10
	s_load_dword s16, s[0:1], 0x0
	v_mul_lo_u32 v2, s6, v1
	s_lshl_b32 s0, s10, 3
	s_lshl_b32 s10, 1, s11
	s_cmp_gt_i32 s9, 0
	s_cselect_b32 s11, -1, 0
	s_add_i32 s1, s6, -1
	v_lshlrev_b32_e32 v3, 3, v2
	v_lshl_add_u32 v8, v2, 2, 0
	v_add3_u32 v9, 0, s0, v3
	v_lshl_add_u32 v10, v0, 2, v8
	v_cmp_eq_u32_e64 s0, 0, v0
	v_lshl_add_u32 v12, s1, 2, v8
	v_lshl_add_u32 v11, v0, 3, v9
	;; [unrolled: 1-line block ×4, first 2 shown]
	s_waitcnt lgkmcnt(0)
	s_mul_i32 s16, s16, s2
	v_lshl_add_u32 v15, s10, 3, v11
	s_branch .LBB24_3
.LBB24_2:                               ;   in Loop: Header=BB24_3 Depth=1
	s_add_i32 s3, s16, s3
	s_cmp_ge_i32 s3, s8
	s_cbranch_scc1 .LBB24_31
.LBB24_3:                               ; =>This Loop Header: Depth=1
                                        ;     Child Loop BB24_6 Depth 2
                                        ;       Child Loop BB24_21 Depth 3
	s_andn2_b32 vcc_lo, exec_lo, s11
	s_cbranch_vccnz .LBB24_2
; %bb.4:                                ;   in Loop: Header=BB24_3 Depth=1
	v_add_nc_u32_e32 v16, s3, v1
	v_mov_b32_e32 v6, 0
	v_mov_b32_e32 v7, 0
	;; [unrolled: 1-line block ×3, first 2 shown]
	s_mov_b32 s17, 0
	v_mul_lo_u32 v2, v16, s9
	v_cmp_gt_i32_e32 vcc_lo, s8, v16
	v_cmp_le_i32_e64 s1, s8, v16
	v_ashrrev_i32_e32 v3, 31, v2
	v_lshlrev_b64 v[4:5], 2, v[2:3]
	v_lshlrev_b64 v[2:3], 3, v[2:3]
	v_add_co_u32 v16, s2, s12, v4
	v_add_co_ci_u32_e64 v17, null, s13, v5, s2
	v_add_co_u32 v18, s2, s14, v4
	v_add_co_ci_u32_e64 v19, null, s15, v5, s2
	;; [unrolled: 2-line block ×3, first 2 shown]
	s_branch .LBB24_6
.LBB24_5:                               ;   in Loop: Header=BB24_6 Depth=2
	s_or_b32 exec_lo, exec_lo, s18
	ds_read_b32 v22, v12
	ds_read_b64 v[6:7], v14
	s_add_i32 s17, s17, s6
	s_waitcnt lgkmcnt(0)
	s_waitcnt_vscnt null, 0x0
	s_cmp_ge_i32 s17, s9
	s_barrier
	buffer_gl0_inv
	s_cbranch_scc1 .LBB24_2
.LBB24_6:                               ;   Parent Loop BB24_3 Depth=1
                                        ; =>  This Loop Header: Depth=2
                                        ;       Child Loop BB24_21 Depth 3
	v_add_nc_u32_e32 v4, s17, v0
	v_add_nc_u32_e32 v2, s10, v4
	s_and_saveexec_b32 s18, vcc_lo
	s_cbranch_execz .LBB24_18
; %bb.7:                                ;   in Loop: Header=BB24_6 Depth=2
	v_cmp_le_i32_e64 s2, s9, v4
	s_and_saveexec_b32 s19, s2
	s_xor_b32 s2, exec_lo, s19
; %bb.8:                                ;   in Loop: Header=BB24_6 Depth=2
	v_mov_b32_e32 v3, s7
	ds_write_b32 v10, v3
; %bb.9:                                ;   in Loop: Header=BB24_6 Depth=2
	s_andn2_saveexec_b32 s19, s2
	s_cbranch_execz .LBB24_11
; %bb.10:                               ;   in Loop: Header=BB24_6 Depth=2
	v_ashrrev_i32_e32 v5, 31, v4
	v_lshlrev_b64 v[23:24], 2, v[4:5]
	v_add_co_u32 v23, s2, v16, v23
	v_add_co_ci_u32_e64 v24, null, v17, v24, s2
	global_load_dword v3, v[23:24], off
	s_waitcnt vmcnt(0)
	ds_write_b32 v10, v3
	ds_write_b64 v11, v[4:5]
.LBB24_11:                              ;   in Loop: Header=BB24_6 Depth=2
	s_or_b32 exec_lo, exec_lo, s19
	v_cmp_le_i32_e64 s2, s9, v2
	s_and_saveexec_b32 s19, s2
	s_xor_b32 s2, exec_lo, s19
	s_cbranch_execnz .LBB24_14
; %bb.12:                               ;   in Loop: Header=BB24_6 Depth=2
	s_andn2_saveexec_b32 s19, s2
	s_cbranch_execnz .LBB24_15
.LBB24_13:                              ;   in Loop: Header=BB24_6 Depth=2
	s_or_b32 exec_lo, exec_lo, s19
	s_and_b32 exec_lo, exec_lo, s0
	s_cbranch_execnz .LBB24_16
	s_branch .LBB24_18
.LBB24_14:                              ;   in Loop: Header=BB24_6 Depth=2
	v_mov_b32_e32 v3, s7
	ds_write_b32 v13, v3
	s_andn2_saveexec_b32 s19, s2
	s_cbranch_execz .LBB24_13
.LBB24_15:                              ;   in Loop: Header=BB24_6 Depth=2
	v_ashrrev_i32_e32 v3, 31, v2
	v_lshlrev_b64 v[23:24], 2, v[2:3]
	v_add_co_u32 v23, s2, v16, v23
	v_add_co_ci_u32_e64 v24, null, v17, v24, s2
	global_load_dword v5, v[23:24], off
	s_waitcnt vmcnt(0)
	ds_write_b32 v13, v5
	ds_write_b64 v15, v[2:3]
	s_or_b32 exec_lo, exec_lo, s19
	s_and_b32 exec_lo, exec_lo, s0
	s_cbranch_execz .LBB24_18
.LBB24_16:                              ;   in Loop: Header=BB24_6 Depth=2
	ds_read_b32 v3, v8
	s_waitcnt lgkmcnt(0)
	v_cmp_gt_i32_e64 s2, v3, v22
	s_and_b32 exec_lo, exec_lo, s2
	s_cbranch_execz .LBB24_18
; %bb.17:                               ;   in Loop: Header=BB24_6 Depth=2
	ds_write_b32 v8, v22
	ds_write_b64 v9, v[6:7]
.LBB24_18:                              ;   in Loop: Header=BB24_6 Depth=2
	s_or_b32 exec_lo, exec_lo, s18
	v_mov_b32_e32 v3, 1
	s_mov_b32 s18, 0
	s_waitcnt lgkmcnt(0)
	s_barrier
	buffer_gl0_inv
	s_inst_prefetch 0x1
	s_branch .LBB24_21
	.p2align	6
.LBB24_19:                              ;   in Loop: Header=BB24_21 Depth=3
	s_or_b32 exec_lo, exec_lo, s20
	v_mov_b32_e32 v3, v5
.LBB24_20:                              ;   in Loop: Header=BB24_21 Depth=3
	s_or_b32 exec_lo, exec_lo, s19
	v_cmp_lt_u32_e64 s2, s10, v3
	s_waitcnt lgkmcnt(0)
	s_barrier
	buffer_gl0_inv
	s_or_b32 s18, s2, s18
	s_andn2_b32 exec_lo, exec_lo, s18
	s_cbranch_execz .LBB24_26
.LBB24_21:                              ;   Parent Loop BB24_3 Depth=1
                                        ;     Parent Loop BB24_6 Depth=2
                                        ; =>    This Inner Loop Header: Depth=3
	v_lshlrev_b32_e32 v5, 1, v3
	s_and_saveexec_b32 s2, s1
	s_xor_b32 s2, exec_lo, s2
; %bb.22:                               ;   in Loop: Header=BB24_21 Depth=3
	v_lshlrev_b32_e32 v3, 1, v3
                                        ; implicit-def: $vgpr5
; %bb.23:                               ;   in Loop: Header=BB24_21 Depth=3
	s_andn2_saveexec_b32 s19, s2
	s_cbranch_execz .LBB24_20
; %bb.24:                               ;   in Loop: Header=BB24_21 Depth=3
	v_ffbl_b32_e32 v6, v3
	v_add_nc_u32_e32 v7, -1, v3
	s_mov_b32 s20, exec_lo
	v_lshrrev_b32_e32 v6, v6, v0
	v_mad_u64_u32 v[22:23], null, v5, v6, v[3:4]
	v_and_b32_e32 v3, v7, v0
	v_add_nc_u32_e32 v6, -1, v22
	v_add_nc_u32_e32 v3, v22, v3
	v_lshl_add_u32 v22, v6, 2, v8
	v_lshl_add_u32 v7, v3, 2, v8
	ds_read_b32 v22, v22
	ds_read_b32 v23, v7
	s_waitcnt lgkmcnt(0)
	v_cmpx_gt_i32_e64 v23, v22
	s_cbranch_execz .LBB24_19
; %bb.25:                               ;   in Loop: Header=BB24_21 Depth=3
	v_lshl_add_u32 v6, v6, 3, v9
	v_lshl_add_u32 v3, v3, 3, v9
	ds_read_b64 v[23:24], v6
	ds_write_b32 v7, v22
	s_waitcnt lgkmcnt(1)
	ds_write_b64 v3, v[23:24]
	s_branch .LBB24_19
.LBB24_26:                              ;   in Loop: Header=BB24_6 Depth=2
	s_inst_prefetch 0x2
	s_or_b32 exec_lo, exec_lo, s18
	s_and_saveexec_b32 s18, vcc_lo
	s_cbranch_execz .LBB24_5
; %bb.27:                               ;   in Loop: Header=BB24_6 Depth=2
	s_mov_b32 s19, exec_lo
	v_cmpx_gt_i32_e64 s9, v4
	s_cbranch_execz .LBB24_29
; %bb.28:                               ;   in Loop: Header=BB24_6 Depth=2
	ds_read_b32 v24, v10
	ds_read_b64 v[6:7], v11
	v_ashrrev_i32_e32 v5, 31, v4
	v_lshlrev_b64 v[22:23], 2, v[4:5]
	v_lshlrev_b64 v[3:4], 3, v[4:5]
	v_add_co_u32 v22, s2, v18, v22
	v_add_co_ci_u32_e64 v23, null, v19, v23, s2
	v_add_co_u32 v3, s2, v20, v3
	v_add_co_ci_u32_e64 v4, null, v21, v4, s2
	s_waitcnt lgkmcnt(1)
	global_store_dword v[22:23], v24, off
	s_waitcnt lgkmcnt(0)
	global_store_dwordx2 v[3:4], v[6:7], off
.LBB24_29:                              ;   in Loop: Header=BB24_6 Depth=2
	s_or_b32 exec_lo, exec_lo, s19
	v_cmp_gt_i32_e64 s2, s9, v2
	s_and_b32 exec_lo, exec_lo, s2
	s_cbranch_execz .LBB24_5
; %bb.30:                               ;   in Loop: Header=BB24_6 Depth=2
	ds_read_b32 v22, v13
	ds_read_b64 v[4:5], v15
	v_ashrrev_i32_e32 v3, 31, v2
	v_lshlrev_b64 v[6:7], 2, v[2:3]
	v_lshlrev_b64 v[2:3], 3, v[2:3]
	v_add_co_u32 v6, s2, v18, v6
	v_add_co_ci_u32_e64 v7, null, v19, v7, s2
	v_add_co_u32 v2, s2, v20, v2
	v_add_co_ci_u32_e64 v3, null, v21, v3, s2
	s_waitcnt lgkmcnt(1)
	global_store_dword v[6:7], v22, off
	s_waitcnt lgkmcnt(0)
	global_store_dwordx2 v[2:3], v[4:5], off
	s_branch .LBB24_5
.LBB24_31:
	s_endpgm
	.section	.rodata,"a",@progbits
	.p2align	6, 0x0
	.amdhsa_kernel _ZN2at6native45tensor_kernel_scan_innermost_dim_with_indicesIiSt10less_equalIiEEEvPKT_PS4_PliijjS4_T0_
		.amdhsa_group_segment_fixed_size 0
		.amdhsa_private_segment_fixed_size 0
		.amdhsa_kernarg_size 304
		.amdhsa_user_sgpr_count 6
		.amdhsa_user_sgpr_private_segment_buffer 1
		.amdhsa_user_sgpr_dispatch_ptr 0
		.amdhsa_user_sgpr_queue_ptr 0
		.amdhsa_user_sgpr_kernarg_segment_ptr 1
		.amdhsa_user_sgpr_dispatch_id 0
		.amdhsa_user_sgpr_flat_scratch_init 0
		.amdhsa_user_sgpr_private_segment_size 0
		.amdhsa_wavefront_size32 1
		.amdhsa_uses_dynamic_stack 0
		.amdhsa_system_sgpr_private_segment_wavefront_offset 0
		.amdhsa_system_sgpr_workgroup_id_x 1
		.amdhsa_system_sgpr_workgroup_id_y 0
		.amdhsa_system_sgpr_workgroup_id_z 0
		.amdhsa_system_sgpr_workgroup_info 0
		.amdhsa_system_vgpr_workitem_id 1
		.amdhsa_next_free_vgpr 25
		.amdhsa_next_free_sgpr 21
		.amdhsa_reserve_vcc 1
		.amdhsa_reserve_flat_scratch 0
		.amdhsa_float_round_mode_32 0
		.amdhsa_float_round_mode_16_64 0
		.amdhsa_float_denorm_mode_32 3
		.amdhsa_float_denorm_mode_16_64 3
		.amdhsa_dx10_clamp 1
		.amdhsa_ieee_mode 1
		.amdhsa_fp16_overflow 0
		.amdhsa_workgroup_processor_mode 1
		.amdhsa_memory_ordered 1
		.amdhsa_forward_progress 1
		.amdhsa_shared_vgpr_count 0
		.amdhsa_exception_fp_ieee_invalid_op 0
		.amdhsa_exception_fp_denorm_src 0
		.amdhsa_exception_fp_ieee_div_zero 0
		.amdhsa_exception_fp_ieee_overflow 0
		.amdhsa_exception_fp_ieee_underflow 0
		.amdhsa_exception_fp_ieee_inexact 0
		.amdhsa_exception_int_div_zero 0
	.end_amdhsa_kernel
	.section	.text._ZN2at6native45tensor_kernel_scan_innermost_dim_with_indicesIiSt10less_equalIiEEEvPKT_PS4_PliijjS4_T0_,"axG",@progbits,_ZN2at6native45tensor_kernel_scan_innermost_dim_with_indicesIiSt10less_equalIiEEEvPKT_PS4_PliijjS4_T0_,comdat
.Lfunc_end24:
	.size	_ZN2at6native45tensor_kernel_scan_innermost_dim_with_indicesIiSt10less_equalIiEEEvPKT_PS4_PliijjS4_T0_, .Lfunc_end24-_ZN2at6native45tensor_kernel_scan_innermost_dim_with_indicesIiSt10less_equalIiEEEvPKT_PS4_PliijjS4_T0_
                                        ; -- End function
	.set _ZN2at6native45tensor_kernel_scan_innermost_dim_with_indicesIiSt10less_equalIiEEEvPKT_PS4_PliijjS4_T0_.num_vgpr, 25
	.set _ZN2at6native45tensor_kernel_scan_innermost_dim_with_indicesIiSt10less_equalIiEEEvPKT_PS4_PliijjS4_T0_.num_agpr, 0
	.set _ZN2at6native45tensor_kernel_scan_innermost_dim_with_indicesIiSt10less_equalIiEEEvPKT_PS4_PliijjS4_T0_.numbered_sgpr, 21
	.set _ZN2at6native45tensor_kernel_scan_innermost_dim_with_indicesIiSt10less_equalIiEEEvPKT_PS4_PliijjS4_T0_.num_named_barrier, 0
	.set _ZN2at6native45tensor_kernel_scan_innermost_dim_with_indicesIiSt10less_equalIiEEEvPKT_PS4_PliijjS4_T0_.private_seg_size, 0
	.set _ZN2at6native45tensor_kernel_scan_innermost_dim_with_indicesIiSt10less_equalIiEEEvPKT_PS4_PliijjS4_T0_.uses_vcc, 1
	.set _ZN2at6native45tensor_kernel_scan_innermost_dim_with_indicesIiSt10less_equalIiEEEvPKT_PS4_PliijjS4_T0_.uses_flat_scratch, 0
	.set _ZN2at6native45tensor_kernel_scan_innermost_dim_with_indicesIiSt10less_equalIiEEEvPKT_PS4_PliijjS4_T0_.has_dyn_sized_stack, 0
	.set _ZN2at6native45tensor_kernel_scan_innermost_dim_with_indicesIiSt10less_equalIiEEEvPKT_PS4_PliijjS4_T0_.has_recursion, 0
	.set _ZN2at6native45tensor_kernel_scan_innermost_dim_with_indicesIiSt10less_equalIiEEEvPKT_PS4_PliijjS4_T0_.has_indirect_call, 0
	.section	.AMDGPU.csdata,"",@progbits
; Kernel info:
; codeLenInByte = 1216
; TotalNumSgprs: 23
; NumVgprs: 25
; ScratchSize: 0
; MemoryBound: 0
; FloatMode: 240
; IeeeMode: 1
; LDSByteSize: 0 bytes/workgroup (compile time only)
; SGPRBlocks: 0
; VGPRBlocks: 3
; NumSGPRsForWavesPerEU: 23
; NumVGPRsForWavesPerEU: 25
; Occupancy: 16
; WaveLimiterHint : 0
; COMPUTE_PGM_RSRC2:SCRATCH_EN: 0
; COMPUTE_PGM_RSRC2:USER_SGPR: 6
; COMPUTE_PGM_RSRC2:TRAP_HANDLER: 0
; COMPUTE_PGM_RSRC2:TGID_X_EN: 1
; COMPUTE_PGM_RSRC2:TGID_Y_EN: 0
; COMPUTE_PGM_RSRC2:TGID_Z_EN: 0
; COMPUTE_PGM_RSRC2:TIDIG_COMP_CNT: 1
	.section	.text._ZN2at6native41tensor_kernel_scan_outer_dim_with_indicesIiSt10less_equalIiEEEvPKT_PS4_PljjjS4_T0_,"axG",@progbits,_ZN2at6native41tensor_kernel_scan_outer_dim_with_indicesIiSt10less_equalIiEEEvPKT_PS4_PljjjS4_T0_,comdat
	.protected	_ZN2at6native41tensor_kernel_scan_outer_dim_with_indicesIiSt10less_equalIiEEEvPKT_PS4_PljjjS4_T0_ ; -- Begin function _ZN2at6native41tensor_kernel_scan_outer_dim_with_indicesIiSt10less_equalIiEEEvPKT_PS4_PljjjS4_T0_
	.globl	_ZN2at6native41tensor_kernel_scan_outer_dim_with_indicesIiSt10less_equalIiEEEvPKT_PS4_PljjjS4_T0_
	.p2align	8
	.type	_ZN2at6native41tensor_kernel_scan_outer_dim_with_indicesIiSt10less_equalIiEEEvPKT_PS4_PljjjS4_T0_,@function
_ZN2at6native41tensor_kernel_scan_outer_dim_with_indicesIiSt10less_equalIiEEEvPKT_PS4_PljjjS4_T0_: ; @_ZN2at6native41tensor_kernel_scan_outer_dim_with_indicesIiSt10less_equalIiEEEvPKT_PS4_PljjjS4_T0_
; %bb.0:
	s_load_dwordx4 s[8:11], s[4:5], 0x18
	s_waitcnt lgkmcnt(0)
	s_cmp_ge_u32 s6, s8
	s_cbranch_scc1 .LBB25_9
; %bb.1:
	s_clause 0x3
	s_load_dword s0, s[4:5], 0x3c
	s_load_dword s1, s[4:5], 0x30
	s_load_dwordx4 s[12:15], s[4:5], 0x0
	s_load_dwordx2 s[2:3], s[4:5], 0x10
	s_add_u32 s4, s4, 48
	s_addc_u32 s5, s5, 0
	s_mul_i32 s18, s6, s10
	v_mov_b32_e32 v2, 0
	s_mov_b32 s17, 0
	s_mov_b32 s16, s9
	s_mul_i32 s22, s18, s9
	s_waitcnt lgkmcnt(0)
	s_and_b32 s26, s0, 0xffff
	s_cmp_lg_u32 s10, 0
	v_mad_u64_u32 v[0:1], null, s7, s26, v[0:1]
	s_mul_i32 s7, s1, s10
	s_cselect_b32 s27, -1, 0
	s_mul_i32 s7, s7, s9
	s_lshl_b64 s[18:19], s[16:17], 3
	s_lshl_b64 s[20:21], s[16:17], 2
	s_mov_b32 s16, s22
	v_cmp_gt_u32_e64 s0, s9, v0
	s_branch .LBB25_3
.LBB25_2:                               ;   in Loop: Header=BB25_3 Depth=1
	s_or_b32 exec_lo, exec_lo, s28
	s_add_i32 s6, s1, s6
	s_add_i32 s16, s16, s7
	s_cmp_ge_u32 s6, s8
	s_cbranch_scc1 .LBB25_9
.LBB25_3:                               ; =>This Loop Header: Depth=1
                                        ;     Child Loop BB25_6 Depth 2
                                        ;       Child Loop BB25_8 Depth 3
	s_and_saveexec_b32 s28, s0
	s_cbranch_execz .LBB25_2
; %bb.4:                                ;   in Loop: Header=BB25_3 Depth=1
	s_load_dword s31, s[4:5], 0x4
	s_lshl_b64 s[24:25], s[16:17], 3
	v_mov_b32_e32 v1, v0
	s_lshl_b64 s[22:23], s[16:17], 2
	s_add_u32 s29, s2, s24
	s_addc_u32 s30, s3, s25
	s_mov_b32 s33, 0
	s_waitcnt lgkmcnt(0)
	s_mul_i32 s31, s31, s26
	s_branch .LBB25_6
.LBB25_5:                               ;   in Loop: Header=BB25_6 Depth=2
	v_add_nc_u32_e32 v1, s31, v1
	v_cmp_le_u32_e32 vcc_lo, s9, v1
	s_or_b32 s33, vcc_lo, s33
	s_andn2_b32 exec_lo, exec_lo, s33
	s_cbranch_execz .LBB25_2
.LBB25_6:                               ;   Parent Loop BB25_3 Depth=1
                                        ; =>  This Loop Header: Depth=2
                                        ;       Child Loop BB25_8 Depth 3
	s_andn2_b32 vcc_lo, exec_lo, s27
	s_cbranch_vccnz .LBB25_5
; %bb.7:                                ;   in Loop: Header=BB25_6 Depth=2
	v_lshlrev_b64 v[3:4], 3, v[1:2]
	v_lshlrev_b64 v[5:6], 2, v[1:2]
	v_mov_b32_e32 v9, s11
	s_mov_b64 s[24:25], 0
	v_add_co_u32 v3, vcc_lo, s29, v3
	v_add_co_ci_u32_e64 v4, null, s30, v4, vcc_lo
	v_add_co_u32 v7, vcc_lo, s22, v5
	v_add_co_ci_u32_e64 v8, null, s23, v6, vcc_lo
	v_mov_b32_e32 v5, 0
	v_mov_b32_e32 v6, 0
	.p2align	6
.LBB25_8:                               ;   Parent Loop BB25_3 Depth=1
                                        ;     Parent Loop BB25_6 Depth=2
                                        ; =>    This Inner Loop Header: Depth=3
	v_add_co_u32 v10, vcc_lo, s12, v7
	v_add_co_ci_u32_e64 v11, null, s13, v8, vcc_lo
	global_load_dword v12, v[10:11], off
	v_add_co_u32 v10, vcc_lo, s14, v7
	v_add_co_ci_u32_e64 v11, null, s15, v8, vcc_lo
	v_add_co_u32 v7, vcc_lo, v7, s20
	v_add_co_ci_u32_e64 v8, null, s21, v8, vcc_lo
	s_waitcnt vmcnt(0)
	v_cmp_gt_i32_e32 vcc_lo, v12, v9
	v_min_i32_e32 v9, v12, v9
	v_cndmask_b32_e32 v6, s25, v6, vcc_lo
	v_cndmask_b32_e32 v5, s24, v5, vcc_lo
	s_add_u32 s24, s24, 1
	s_addc_u32 s25, s25, 0
	s_cmp_eq_u32 s10, s24
	global_store_dword v[10:11], v9, off
	global_store_dwordx2 v[3:4], v[5:6], off
	v_add_co_u32 v3, vcc_lo, v3, s18
	v_add_co_ci_u32_e64 v4, null, s19, v4, vcc_lo
	s_cbranch_scc0 .LBB25_8
	s_branch .LBB25_5
.LBB25_9:
	s_endpgm
	.section	.rodata,"a",@progbits
	.p2align	6, 0x0
	.amdhsa_kernel _ZN2at6native41tensor_kernel_scan_outer_dim_with_indicesIiSt10less_equalIiEEEvPKT_PS4_PljjjS4_T0_
		.amdhsa_group_segment_fixed_size 0
		.amdhsa_private_segment_fixed_size 0
		.amdhsa_kernarg_size 304
		.amdhsa_user_sgpr_count 6
		.amdhsa_user_sgpr_private_segment_buffer 1
		.amdhsa_user_sgpr_dispatch_ptr 0
		.amdhsa_user_sgpr_queue_ptr 0
		.amdhsa_user_sgpr_kernarg_segment_ptr 1
		.amdhsa_user_sgpr_dispatch_id 0
		.amdhsa_user_sgpr_flat_scratch_init 0
		.amdhsa_user_sgpr_private_segment_size 0
		.amdhsa_wavefront_size32 1
		.amdhsa_uses_dynamic_stack 0
		.amdhsa_system_sgpr_private_segment_wavefront_offset 0
		.amdhsa_system_sgpr_workgroup_id_x 1
		.amdhsa_system_sgpr_workgroup_id_y 1
		.amdhsa_system_sgpr_workgroup_id_z 0
		.amdhsa_system_sgpr_workgroup_info 0
		.amdhsa_system_vgpr_workitem_id 0
		.amdhsa_next_free_vgpr 13
		.amdhsa_next_free_sgpr 34
		.amdhsa_reserve_vcc 1
		.amdhsa_reserve_flat_scratch 0
		.amdhsa_float_round_mode_32 0
		.amdhsa_float_round_mode_16_64 0
		.amdhsa_float_denorm_mode_32 3
		.amdhsa_float_denorm_mode_16_64 3
		.amdhsa_dx10_clamp 1
		.amdhsa_ieee_mode 1
		.amdhsa_fp16_overflow 0
		.amdhsa_workgroup_processor_mode 1
		.amdhsa_memory_ordered 1
		.amdhsa_forward_progress 1
		.amdhsa_shared_vgpr_count 0
		.amdhsa_exception_fp_ieee_invalid_op 0
		.amdhsa_exception_fp_denorm_src 0
		.amdhsa_exception_fp_ieee_div_zero 0
		.amdhsa_exception_fp_ieee_overflow 0
		.amdhsa_exception_fp_ieee_underflow 0
		.amdhsa_exception_fp_ieee_inexact 0
		.amdhsa_exception_int_div_zero 0
	.end_amdhsa_kernel
	.section	.text._ZN2at6native41tensor_kernel_scan_outer_dim_with_indicesIiSt10less_equalIiEEEvPKT_PS4_PljjjS4_T0_,"axG",@progbits,_ZN2at6native41tensor_kernel_scan_outer_dim_with_indicesIiSt10less_equalIiEEEvPKT_PS4_PljjjS4_T0_,comdat
.Lfunc_end25:
	.size	_ZN2at6native41tensor_kernel_scan_outer_dim_with_indicesIiSt10less_equalIiEEEvPKT_PS4_PljjjS4_T0_, .Lfunc_end25-_ZN2at6native41tensor_kernel_scan_outer_dim_with_indicesIiSt10less_equalIiEEEvPKT_PS4_PljjjS4_T0_
                                        ; -- End function
	.set _ZN2at6native41tensor_kernel_scan_outer_dim_with_indicesIiSt10less_equalIiEEEvPKT_PS4_PljjjS4_T0_.num_vgpr, 13
	.set _ZN2at6native41tensor_kernel_scan_outer_dim_with_indicesIiSt10less_equalIiEEEvPKT_PS4_PljjjS4_T0_.num_agpr, 0
	.set _ZN2at6native41tensor_kernel_scan_outer_dim_with_indicesIiSt10less_equalIiEEEvPKT_PS4_PljjjS4_T0_.numbered_sgpr, 34
	.set _ZN2at6native41tensor_kernel_scan_outer_dim_with_indicesIiSt10less_equalIiEEEvPKT_PS4_PljjjS4_T0_.num_named_barrier, 0
	.set _ZN2at6native41tensor_kernel_scan_outer_dim_with_indicesIiSt10less_equalIiEEEvPKT_PS4_PljjjS4_T0_.private_seg_size, 0
	.set _ZN2at6native41tensor_kernel_scan_outer_dim_with_indicesIiSt10less_equalIiEEEvPKT_PS4_PljjjS4_T0_.uses_vcc, 1
	.set _ZN2at6native41tensor_kernel_scan_outer_dim_with_indicesIiSt10less_equalIiEEEvPKT_PS4_PljjjS4_T0_.uses_flat_scratch, 0
	.set _ZN2at6native41tensor_kernel_scan_outer_dim_with_indicesIiSt10less_equalIiEEEvPKT_PS4_PljjjS4_T0_.has_dyn_sized_stack, 0
	.set _ZN2at6native41tensor_kernel_scan_outer_dim_with_indicesIiSt10less_equalIiEEEvPKT_PS4_PljjjS4_T0_.has_recursion, 0
	.set _ZN2at6native41tensor_kernel_scan_outer_dim_with_indicesIiSt10less_equalIiEEEvPKT_PS4_PljjjS4_T0_.has_indirect_call, 0
	.section	.AMDGPU.csdata,"",@progbits
; Kernel info:
; codeLenInByte = 452
; TotalNumSgprs: 36
; NumVgprs: 13
; ScratchSize: 0
; MemoryBound: 0
; FloatMode: 240
; IeeeMode: 1
; LDSByteSize: 0 bytes/workgroup (compile time only)
; SGPRBlocks: 0
; VGPRBlocks: 1
; NumSGPRsForWavesPerEU: 36
; NumVGPRsForWavesPerEU: 13
; Occupancy: 16
; WaveLimiterHint : 0
; COMPUTE_PGM_RSRC2:SCRATCH_EN: 0
; COMPUTE_PGM_RSRC2:USER_SGPR: 6
; COMPUTE_PGM_RSRC2:TRAP_HANDLER: 0
; COMPUTE_PGM_RSRC2:TGID_X_EN: 1
; COMPUTE_PGM_RSRC2:TGID_Y_EN: 1
; COMPUTE_PGM_RSRC2:TGID_Z_EN: 0
; COMPUTE_PGM_RSRC2:TIDIG_COMP_CNT: 0
	.section	.text._ZN2at6native45tensor_kernel_scan_innermost_dim_with_indicesIlSt10less_equalIlEEEvPKT_PS4_PliijjS4_T0_,"axG",@progbits,_ZN2at6native45tensor_kernel_scan_innermost_dim_with_indicesIlSt10less_equalIlEEEvPKT_PS4_PliijjS4_T0_,comdat
	.protected	_ZN2at6native45tensor_kernel_scan_innermost_dim_with_indicesIlSt10less_equalIlEEEvPKT_PS4_PliijjS4_T0_ ; -- Begin function _ZN2at6native45tensor_kernel_scan_innermost_dim_with_indicesIlSt10less_equalIlEEEvPKT_PS4_PliijjS4_T0_
	.globl	_ZN2at6native45tensor_kernel_scan_innermost_dim_with_indicesIlSt10less_equalIlEEEvPKT_PS4_PliijjS4_T0_
	.p2align	8
	.type	_ZN2at6native45tensor_kernel_scan_innermost_dim_with_indicesIlSt10less_equalIlEEEvPKT_PS4_PliijjS4_T0_,@function
_ZN2at6native45tensor_kernel_scan_innermost_dim_with_indicesIlSt10less_equalIlEEEvPKT_PS4_PliijjS4_T0_: ; @_ZN2at6native45tensor_kernel_scan_innermost_dim_with_indicesIlSt10less_equalIlEEEvPKT_PS4_PliijjS4_T0_
; %bb.0:
	s_clause 0x1
	s_load_dword s2, s[4:5], 0x44
	s_load_dwordx4 s[8:11], s[4:5], 0x18
	s_add_u32 s0, s4, 56
	s_addc_u32 s1, s5, 0
	s_waitcnt lgkmcnt(0)
	s_lshr_b32 s2, s2, 16
	s_mul_i32 s3, s6, s2
	s_cmp_ge_i32 s3, s8
	s_cbranch_scc1 .LBB26_31
; %bb.1:
	s_lshl_b32 s16, 2, s11
	s_clause 0x2
	s_load_dwordx4 s[12:15], s[4:5], 0x0
	s_load_dwordx2 s[6:7], s[4:5], 0x10
	s_load_dwordx2 s[4:5], s[4:5], 0x28
	v_mul_lo_u32 v2, s16, v1
	s_load_dword s1, s[0:1], 0x0
	s_lshl_b32 s17, s10, 4
	v_lshlrev_b32_e32 v3, 3, v0
	s_lshl_b32 s10, 1, s11
	s_cmp_gt_i32 s9, 0
	v_cmp_eq_u32_e64 s0, 0, v0
	s_cselect_b32 s11, -1, 0
	v_lshlrev_b32_e32 v2, 3, v2
	s_lshl_b32 s18, s10, 3
	v_add_nc_u32_e32 v10, 0, v2
	v_add3_u32 v11, 0, s17, v2
	s_lshl_b32 s17, s16, 3
	s_add_i32 s17, s17, -8
	v_add_nc_u32_e32 v12, v10, v3
	v_add_nc_u32_e32 v13, v11, v3
	;; [unrolled: 1-line block ×4, first 2 shown]
	s_waitcnt lgkmcnt(0)
	s_mul_i32 s17, s1, s2
	v_add_nc_u32_e32 v16, s18, v12
	v_add_nc_u32_e32 v17, s18, v13
	s_branch .LBB26_3
.LBB26_2:                               ;   in Loop: Header=BB26_3 Depth=1
	s_add_i32 s3, s17, s3
	s_cmp_ge_i32 s3, s8
	s_cbranch_scc1 .LBB26_31
.LBB26_3:                               ; =>This Loop Header: Depth=1
                                        ;     Child Loop BB26_6 Depth 2
                                        ;       Child Loop BB26_21 Depth 3
	s_andn2_b32 vcc_lo, exec_lo, s11
	s_cbranch_vccnz .LBB26_2
; %bb.4:                                ;   in Loop: Header=BB26_3 Depth=1
	v_add_nc_u32_e32 v4, s3, v1
	v_mov_b32_e32 v6, 0
	v_mov_b32_e32 v9, s5
	;; [unrolled: 1-line block ×4, first 2 shown]
	v_mul_lo_u32 v2, v4, s9
	v_cmp_le_i32_e64 s1, s8, v4
	s_mov_b32 s18, 0
	v_cmp_gt_i32_e32 vcc_lo, s8, v4
	v_ashrrev_i32_e32 v3, 31, v2
	v_lshlrev_b64 v[2:3], 3, v[2:3]
	v_add_co_u32 v18, s2, s12, v2
	v_add_co_ci_u32_e64 v19, null, s13, v3, s2
	v_add_co_u32 v20, s2, s14, v2
	v_add_co_ci_u32_e64 v21, null, s15, v3, s2
	v_add_co_u32 v22, s2, s6, v2
	v_add_co_ci_u32_e64 v23, null, s7, v3, s2
	s_branch .LBB26_6
.LBB26_5:                               ;   in Loop: Header=BB26_6 Depth=2
	s_or_b32 exec_lo, exec_lo, s19
	ds_read_b64 v[8:9], v14
	ds_read_b64 v[6:7], v15
	s_add_i32 s18, s18, s16
	s_waitcnt lgkmcnt(0)
	s_waitcnt_vscnt null, 0x0
	s_cmp_ge_i32 s18, s9
	s_barrier
	buffer_gl0_inv
	s_cbranch_scc1 .LBB26_2
.LBB26_6:                               ;   Parent Loop BB26_3 Depth=1
                                        ; =>  This Loop Header: Depth=2
                                        ;       Child Loop BB26_21 Depth 3
	v_add_nc_u32_e32 v4, s18, v0
	v_add_nc_u32_e32 v2, s10, v4
	s_and_saveexec_b32 s19, vcc_lo
	s_cbranch_execz .LBB26_18
; %bb.7:                                ;   in Loop: Header=BB26_6 Depth=2
	v_cmp_le_i32_e64 s2, s9, v4
	s_and_saveexec_b32 s20, s2
	s_xor_b32 s2, exec_lo, s20
; %bb.8:                                ;   in Loop: Header=BB26_6 Depth=2
	v_mov_b32_e32 v25, s5
	v_mov_b32_e32 v24, s4
	ds_write_b64 v12, v[24:25]
; %bb.9:                                ;   in Loop: Header=BB26_6 Depth=2
	s_andn2_saveexec_b32 s20, s2
	s_cbranch_execz .LBB26_11
; %bb.10:                               ;   in Loop: Header=BB26_6 Depth=2
	v_ashrrev_i32_e32 v5, 31, v4
	v_lshlrev_b64 v[24:25], 3, v[4:5]
	v_add_co_u32 v24, s2, v18, v24
	v_add_co_ci_u32_e64 v25, null, v19, v25, s2
	global_load_dwordx2 v[24:25], v[24:25], off
	s_waitcnt vmcnt(0)
	ds_write_b64 v12, v[24:25]
	ds_write_b64 v13, v[4:5]
.LBB26_11:                              ;   in Loop: Header=BB26_6 Depth=2
	s_or_b32 exec_lo, exec_lo, s20
	v_cmp_le_i32_e64 s2, s9, v2
	s_and_saveexec_b32 s20, s2
	s_xor_b32 s2, exec_lo, s20
	s_cbranch_execnz .LBB26_14
; %bb.12:                               ;   in Loop: Header=BB26_6 Depth=2
	s_andn2_saveexec_b32 s20, s2
	s_cbranch_execnz .LBB26_15
.LBB26_13:                              ;   in Loop: Header=BB26_6 Depth=2
	s_or_b32 exec_lo, exec_lo, s20
	s_and_b32 exec_lo, exec_lo, s0
	s_cbranch_execnz .LBB26_16
	s_branch .LBB26_18
.LBB26_14:                              ;   in Loop: Header=BB26_6 Depth=2
	v_mov_b32_e32 v25, s5
	v_mov_b32_e32 v24, s4
	ds_write_b64 v16, v[24:25]
	s_andn2_saveexec_b32 s20, s2
	s_cbranch_execz .LBB26_13
.LBB26_15:                              ;   in Loop: Header=BB26_6 Depth=2
	v_ashrrev_i32_e32 v3, 31, v2
	v_lshlrev_b64 v[24:25], 3, v[2:3]
	v_add_co_u32 v24, s2, v18, v24
	v_add_co_ci_u32_e64 v25, null, v19, v25, s2
	global_load_dwordx2 v[24:25], v[24:25], off
	s_waitcnt vmcnt(0)
	ds_write_b64 v16, v[24:25]
	ds_write_b64 v17, v[2:3]
	s_or_b32 exec_lo, exec_lo, s20
	s_and_b32 exec_lo, exec_lo, s0
	s_cbranch_execz .LBB26_18
.LBB26_16:                              ;   in Loop: Header=BB26_6 Depth=2
	ds_read_b64 v[24:25], v10
	s_waitcnt lgkmcnt(0)
	v_cmp_gt_i64_e64 s2, v[24:25], v[8:9]
	s_and_b32 exec_lo, exec_lo, s2
	s_cbranch_execz .LBB26_18
; %bb.17:                               ;   in Loop: Header=BB26_6 Depth=2
	ds_write_b64 v10, v[8:9]
	ds_write_b64 v11, v[6:7]
.LBB26_18:                              ;   in Loop: Header=BB26_6 Depth=2
	s_or_b32 exec_lo, exec_lo, s19
	v_mov_b32_e32 v3, 1
	s_mov_b32 s19, 0
	s_waitcnt lgkmcnt(0)
	s_barrier
	buffer_gl0_inv
	s_inst_prefetch 0x1
	s_branch .LBB26_21
	.p2align	6
.LBB26_19:                              ;   in Loop: Header=BB26_21 Depth=3
	s_or_b32 exec_lo, exec_lo, s21
	v_mov_b32_e32 v3, v7
.LBB26_20:                              ;   in Loop: Header=BB26_21 Depth=3
	s_or_b32 exec_lo, exec_lo, s20
	v_cmp_lt_u32_e64 s2, s10, v3
	s_waitcnt lgkmcnt(0)
	s_barrier
	buffer_gl0_inv
	s_or_b32 s19, s2, s19
	s_andn2_b32 exec_lo, exec_lo, s19
	s_cbranch_execz .LBB26_26
.LBB26_21:                              ;   Parent Loop BB26_3 Depth=1
                                        ;     Parent Loop BB26_6 Depth=2
                                        ; =>    This Inner Loop Header: Depth=3
	v_lshlrev_b32_e32 v7, 1, v3
	s_and_saveexec_b32 s2, s1
	s_xor_b32 s2, exec_lo, s2
; %bb.22:                               ;   in Loop: Header=BB26_21 Depth=3
	v_lshlrev_b32_e32 v3, 1, v3
                                        ; implicit-def: $vgpr7
; %bb.23:                               ;   in Loop: Header=BB26_21 Depth=3
	s_andn2_saveexec_b32 s20, s2
	s_cbranch_execz .LBB26_20
; %bb.24:                               ;   in Loop: Header=BB26_21 Depth=3
	v_ffbl_b32_e32 v5, v3
	v_add_nc_u32_e32 v8, -1, v3
	s_mov_b32 s21, exec_lo
	v_lshrrev_b32_e32 v5, v5, v0
	v_mad_u64_u32 v[5:6], null, v7, v5, v[3:4]
	v_and_b32_e32 v3, v8, v0
	v_add_nc_u32_e32 v8, -1, v5
	v_add_nc_u32_e32 v3, v5, v3
	v_lshl_add_u32 v5, v8, 3, v10
	v_lshl_add_u32 v9, v3, 3, v10
	ds_read_b64 v[5:6], v5
	ds_read_b64 v[24:25], v9
	s_waitcnt lgkmcnt(0)
	v_cmpx_gt_i64_e64 v[24:25], v[5:6]
	s_cbranch_execz .LBB26_19
; %bb.25:                               ;   in Loop: Header=BB26_21 Depth=3
	v_lshl_add_u32 v8, v8, 3, v11
	v_lshl_add_u32 v3, v3, 3, v11
	ds_read_b64 v[24:25], v8
	ds_write_b64 v9, v[5:6]
	s_waitcnt lgkmcnt(1)
	ds_write_b64 v3, v[24:25]
	s_branch .LBB26_19
.LBB26_26:                              ;   in Loop: Header=BB26_6 Depth=2
	s_inst_prefetch 0x2
	s_or_b32 exec_lo, exec_lo, s19
	s_and_saveexec_b32 s19, vcc_lo
	s_cbranch_execz .LBB26_5
; %bb.27:                               ;   in Loop: Header=BB26_6 Depth=2
	s_mov_b32 s20, exec_lo
	v_cmpx_gt_i32_e64 s9, v4
	s_cbranch_execz .LBB26_29
; %bb.28:                               ;   in Loop: Header=BB26_6 Depth=2
	ds_read_b64 v[6:7], v12
	ds_read_b64 v[8:9], v13
	v_ashrrev_i32_e32 v5, 31, v4
	v_lshlrev_b64 v[3:4], 3, v[4:5]
	v_add_co_u32 v24, s2, v20, v3
	v_add_co_ci_u32_e64 v25, null, v21, v4, s2
	v_add_co_u32 v3, s2, v22, v3
	v_add_co_ci_u32_e64 v4, null, v23, v4, s2
	s_waitcnt lgkmcnt(1)
	global_store_dwordx2 v[24:25], v[6:7], off
	s_waitcnt lgkmcnt(0)
	global_store_dwordx2 v[3:4], v[8:9], off
.LBB26_29:                              ;   in Loop: Header=BB26_6 Depth=2
	s_or_b32 exec_lo, exec_lo, s20
	v_cmp_gt_i32_e64 s2, s9, v2
	s_and_b32 exec_lo, exec_lo, s2
	s_cbranch_execz .LBB26_5
; %bb.30:                               ;   in Loop: Header=BB26_6 Depth=2
	ds_read_b64 v[4:5], v16
	ds_read_b64 v[6:7], v17
	v_ashrrev_i32_e32 v3, 31, v2
	v_lshlrev_b64 v[2:3], 3, v[2:3]
	v_add_co_u32 v8, s2, v20, v2
	v_add_co_ci_u32_e64 v9, null, v21, v3, s2
	v_add_co_u32 v2, s2, v22, v2
	v_add_co_ci_u32_e64 v3, null, v23, v3, s2
	s_waitcnt lgkmcnt(1)
	global_store_dwordx2 v[8:9], v[4:5], off
	s_waitcnt lgkmcnt(0)
	global_store_dwordx2 v[2:3], v[6:7], off
	s_branch .LBB26_5
.LBB26_31:
	s_endpgm
	.section	.rodata,"a",@progbits
	.p2align	6, 0x0
	.amdhsa_kernel _ZN2at6native45tensor_kernel_scan_innermost_dim_with_indicesIlSt10less_equalIlEEEvPKT_PS4_PliijjS4_T0_
		.amdhsa_group_segment_fixed_size 0
		.amdhsa_private_segment_fixed_size 0
		.amdhsa_kernarg_size 312
		.amdhsa_user_sgpr_count 6
		.amdhsa_user_sgpr_private_segment_buffer 1
		.amdhsa_user_sgpr_dispatch_ptr 0
		.amdhsa_user_sgpr_queue_ptr 0
		.amdhsa_user_sgpr_kernarg_segment_ptr 1
		.amdhsa_user_sgpr_dispatch_id 0
		.amdhsa_user_sgpr_flat_scratch_init 0
		.amdhsa_user_sgpr_private_segment_size 0
		.amdhsa_wavefront_size32 1
		.amdhsa_uses_dynamic_stack 0
		.amdhsa_system_sgpr_private_segment_wavefront_offset 0
		.amdhsa_system_sgpr_workgroup_id_x 1
		.amdhsa_system_sgpr_workgroup_id_y 0
		.amdhsa_system_sgpr_workgroup_id_z 0
		.amdhsa_system_sgpr_workgroup_info 0
		.amdhsa_system_vgpr_workitem_id 1
		.amdhsa_next_free_vgpr 26
		.amdhsa_next_free_sgpr 22
		.amdhsa_reserve_vcc 1
		.amdhsa_reserve_flat_scratch 0
		.amdhsa_float_round_mode_32 0
		.amdhsa_float_round_mode_16_64 0
		.amdhsa_float_denorm_mode_32 3
		.amdhsa_float_denorm_mode_16_64 3
		.amdhsa_dx10_clamp 1
		.amdhsa_ieee_mode 1
		.amdhsa_fp16_overflow 0
		.amdhsa_workgroup_processor_mode 1
		.amdhsa_memory_ordered 1
		.amdhsa_forward_progress 1
		.amdhsa_shared_vgpr_count 0
		.amdhsa_exception_fp_ieee_invalid_op 0
		.amdhsa_exception_fp_denorm_src 0
		.amdhsa_exception_fp_ieee_div_zero 0
		.amdhsa_exception_fp_ieee_overflow 0
		.amdhsa_exception_fp_ieee_underflow 0
		.amdhsa_exception_fp_ieee_inexact 0
		.amdhsa_exception_int_div_zero 0
	.end_amdhsa_kernel
	.section	.text._ZN2at6native45tensor_kernel_scan_innermost_dim_with_indicesIlSt10less_equalIlEEEvPKT_PS4_PliijjS4_T0_,"axG",@progbits,_ZN2at6native45tensor_kernel_scan_innermost_dim_with_indicesIlSt10less_equalIlEEEvPKT_PS4_PliijjS4_T0_,comdat
.Lfunc_end26:
	.size	_ZN2at6native45tensor_kernel_scan_innermost_dim_with_indicesIlSt10less_equalIlEEEvPKT_PS4_PliijjS4_T0_, .Lfunc_end26-_ZN2at6native45tensor_kernel_scan_innermost_dim_with_indicesIlSt10less_equalIlEEEvPKT_PS4_PliijjS4_T0_
                                        ; -- End function
	.set _ZN2at6native45tensor_kernel_scan_innermost_dim_with_indicesIlSt10less_equalIlEEEvPKT_PS4_PliijjS4_T0_.num_vgpr, 26
	.set _ZN2at6native45tensor_kernel_scan_innermost_dim_with_indicesIlSt10less_equalIlEEEvPKT_PS4_PliijjS4_T0_.num_agpr, 0
	.set _ZN2at6native45tensor_kernel_scan_innermost_dim_with_indicesIlSt10less_equalIlEEEvPKT_PS4_PliijjS4_T0_.numbered_sgpr, 22
	.set _ZN2at6native45tensor_kernel_scan_innermost_dim_with_indicesIlSt10less_equalIlEEEvPKT_PS4_PliijjS4_T0_.num_named_barrier, 0
	.set _ZN2at6native45tensor_kernel_scan_innermost_dim_with_indicesIlSt10less_equalIlEEEvPKT_PS4_PliijjS4_T0_.private_seg_size, 0
	.set _ZN2at6native45tensor_kernel_scan_innermost_dim_with_indicesIlSt10less_equalIlEEEvPKT_PS4_PliijjS4_T0_.uses_vcc, 1
	.set _ZN2at6native45tensor_kernel_scan_innermost_dim_with_indicesIlSt10less_equalIlEEEvPKT_PS4_PliijjS4_T0_.uses_flat_scratch, 0
	.set _ZN2at6native45tensor_kernel_scan_innermost_dim_with_indicesIlSt10less_equalIlEEEvPKT_PS4_PliijjS4_T0_.has_dyn_sized_stack, 0
	.set _ZN2at6native45tensor_kernel_scan_innermost_dim_with_indicesIlSt10less_equalIlEEEvPKT_PS4_PliijjS4_T0_.has_recursion, 0
	.set _ZN2at6native45tensor_kernel_scan_innermost_dim_with_indicesIlSt10less_equalIlEEEvPKT_PS4_PliijjS4_T0_.has_indirect_call, 0
	.section	.AMDGPU.csdata,"",@progbits
; Kernel info:
; codeLenInByte = 1136
; TotalNumSgprs: 24
; NumVgprs: 26
; ScratchSize: 0
; MemoryBound: 0
; FloatMode: 240
; IeeeMode: 1
; LDSByteSize: 0 bytes/workgroup (compile time only)
; SGPRBlocks: 0
; VGPRBlocks: 3
; NumSGPRsForWavesPerEU: 24
; NumVGPRsForWavesPerEU: 26
; Occupancy: 16
; WaveLimiterHint : 0
; COMPUTE_PGM_RSRC2:SCRATCH_EN: 0
; COMPUTE_PGM_RSRC2:USER_SGPR: 6
; COMPUTE_PGM_RSRC2:TRAP_HANDLER: 0
; COMPUTE_PGM_RSRC2:TGID_X_EN: 1
; COMPUTE_PGM_RSRC2:TGID_Y_EN: 0
; COMPUTE_PGM_RSRC2:TGID_Z_EN: 0
; COMPUTE_PGM_RSRC2:TIDIG_COMP_CNT: 1
	.section	.text._ZN2at6native41tensor_kernel_scan_outer_dim_with_indicesIlSt10less_equalIlEEEvPKT_PS4_PljjjS4_T0_,"axG",@progbits,_ZN2at6native41tensor_kernel_scan_outer_dim_with_indicesIlSt10less_equalIlEEEvPKT_PS4_PljjjS4_T0_,comdat
	.protected	_ZN2at6native41tensor_kernel_scan_outer_dim_with_indicesIlSt10less_equalIlEEEvPKT_PS4_PljjjS4_T0_ ; -- Begin function _ZN2at6native41tensor_kernel_scan_outer_dim_with_indicesIlSt10less_equalIlEEEvPKT_PS4_PljjjS4_T0_
	.globl	_ZN2at6native41tensor_kernel_scan_outer_dim_with_indicesIlSt10less_equalIlEEEvPKT_PS4_PljjjS4_T0_
	.p2align	8
	.type	_ZN2at6native41tensor_kernel_scan_outer_dim_with_indicesIlSt10less_equalIlEEEvPKT_PS4_PljjjS4_T0_,@function
_ZN2at6native41tensor_kernel_scan_outer_dim_with_indicesIlSt10less_equalIlEEEvPKT_PS4_PljjjS4_T0_: ; @_ZN2at6native41tensor_kernel_scan_outer_dim_with_indicesIlSt10less_equalIlEEEvPKT_PS4_PljjjS4_T0_
; %bb.0:
	s_load_dwordx4 s[8:11], s[4:5], 0x18
	s_waitcnt lgkmcnt(0)
	s_cmp_ge_u32 s6, s8
	s_cbranch_scc1 .LBB27_9
; %bb.1:
	s_clause 0x4
	s_load_dword s0, s[4:5], 0x44
	s_load_dword s3, s[4:5], 0x38
	s_load_dwordx2 s[16:17], s[4:5], 0x28
	s_load_dwordx4 s[12:15], s[4:5], 0x0
	s_load_dwordx2 s[18:19], s[4:5], 0x10
	s_add_u32 s4, s4, 56
	s_addc_u32 s5, s5, 0
	v_mov_b32_e32 v2, 0
	s_mov_b32 s21, 0
	s_mov_b32 s20, s9
	s_waitcnt lgkmcnt(0)
	s_and_b32 s11, s0, 0xffff
	s_mul_i32 s0, s6, s10
	v_mad_u64_u32 v[0:1], null, s7, s11, v[0:1]
	s_mul_i32 s1, s0, s9
	s_cmp_lg_u32 s10, 0
	s_mul_i32 s28, s3, s10
	s_cselect_b32 s7, -1, 0
	s_mul_i32 s28, s28, s9
	s_lshl_b64 s[22:23], s[20:21], 3
	v_cmp_gt_u32_e64 s0, s9, v0
	s_mov_b32 s20, s1
	s_branch .LBB27_3
.LBB27_2:                               ;   in Loop: Header=BB27_3 Depth=1
	s_or_b32 exec_lo, exec_lo, s29
	s_add_i32 s6, s3, s6
	s_add_i32 s20, s20, s28
	s_cmp_ge_u32 s6, s8
	s_cbranch_scc1 .LBB27_9
.LBB27_3:                               ; =>This Loop Header: Depth=1
                                        ;     Child Loop BB27_6 Depth 2
                                        ;       Child Loop BB27_8 Depth 3
	s_and_saveexec_b32 s29, s0
	s_cbranch_execz .LBB27_2
; %bb.4:                                ;   in Loop: Header=BB27_3 Depth=1
	s_load_dword s30, s[4:5], 0x4
	v_mov_b32_e32 v1, v0
	s_lshl_b64 s[24:25], s[20:21], 3
	s_mov_b32 s31, 0
	s_waitcnt lgkmcnt(0)
	s_mul_i32 s30, s30, s11
	s_branch .LBB27_6
.LBB27_5:                               ;   in Loop: Header=BB27_6 Depth=2
	s_inst_prefetch 0x2
	v_add_nc_u32_e32 v1, s30, v1
	v_cmp_le_u32_e32 vcc_lo, s9, v1
	s_or_b32 s31, vcc_lo, s31
	s_andn2_b32 exec_lo, exec_lo, s31
	s_cbranch_execz .LBB27_2
.LBB27_6:                               ;   Parent Loop BB27_3 Depth=1
                                        ; =>  This Loop Header: Depth=2
                                        ;       Child Loop BB27_8 Depth 3
	s_andn2_b32 vcc_lo, exec_lo, s7
	s_cbranch_vccnz .LBB27_5
; %bb.7:                                ;   in Loop: Header=BB27_6 Depth=2
	v_lshlrev_b64 v[5:6], 3, v[1:2]
	v_mov_b32_e32 v3, 0
	v_mov_b32_e32 v4, 0
	s_mov_b64 s[26:27], 0
	v_add_co_u32 v7, vcc_lo, s24, v5
	v_add_co_ci_u32_e64 v8, null, s25, v6, vcc_lo
	v_mov_b32_e32 v5, s16
	v_mov_b32_e32 v6, s17
	s_inst_prefetch 0x1
	.p2align	6
.LBB27_8:                               ;   Parent Loop BB27_3 Depth=1
                                        ;     Parent Loop BB27_6 Depth=2
                                        ; =>    This Inner Loop Header: Depth=3
	v_add_co_u32 v9, vcc_lo, s12, v7
	v_add_co_ci_u32_e64 v10, null, s13, v8, vcc_lo
	v_add_co_u32 v11, vcc_lo, s18, v7
	v_add_co_ci_u32_e64 v12, null, s19, v8, vcc_lo
	global_load_dwordx2 v[9:10], v[9:10], off
	v_add_co_u32 v13, vcc_lo, s14, v7
	v_add_co_ci_u32_e64 v14, null, s15, v8, vcc_lo
	v_add_co_u32 v7, vcc_lo, v7, s22
	v_add_co_ci_u32_e64 v8, null, s23, v8, vcc_lo
	s_waitcnt vmcnt(0)
	v_cmp_lt_i64_e64 s1, v[9:10], v[5:6]
	v_cmp_gt_i64_e64 s2, v[9:10], v[5:6]
	v_cndmask_b32_e64 v6, v6, v10, s1
	v_cndmask_b32_e64 v4, s27, v4, s2
	;; [unrolled: 1-line block ×4, first 2 shown]
	s_add_u32 s26, s26, 1
	s_addc_u32 s27, s27, 0
	s_cmp_eq_u32 s10, s26
	global_store_dwordx2 v[13:14], v[5:6], off
	global_store_dwordx2 v[11:12], v[3:4], off
	s_cbranch_scc0 .LBB27_8
	s_branch .LBB27_5
.LBB27_9:
	s_endpgm
	.section	.rodata,"a",@progbits
	.p2align	6, 0x0
	.amdhsa_kernel _ZN2at6native41tensor_kernel_scan_outer_dim_with_indicesIlSt10less_equalIlEEEvPKT_PS4_PljjjS4_T0_
		.amdhsa_group_segment_fixed_size 0
		.amdhsa_private_segment_fixed_size 0
		.amdhsa_kernarg_size 312
		.amdhsa_user_sgpr_count 6
		.amdhsa_user_sgpr_private_segment_buffer 1
		.amdhsa_user_sgpr_dispatch_ptr 0
		.amdhsa_user_sgpr_queue_ptr 0
		.amdhsa_user_sgpr_kernarg_segment_ptr 1
		.amdhsa_user_sgpr_dispatch_id 0
		.amdhsa_user_sgpr_flat_scratch_init 0
		.amdhsa_user_sgpr_private_segment_size 0
		.amdhsa_wavefront_size32 1
		.amdhsa_uses_dynamic_stack 0
		.amdhsa_system_sgpr_private_segment_wavefront_offset 0
		.amdhsa_system_sgpr_workgroup_id_x 1
		.amdhsa_system_sgpr_workgroup_id_y 1
		.amdhsa_system_sgpr_workgroup_id_z 0
		.amdhsa_system_sgpr_workgroup_info 0
		.amdhsa_system_vgpr_workitem_id 0
		.amdhsa_next_free_vgpr 15
		.amdhsa_next_free_sgpr 32
		.amdhsa_reserve_vcc 1
		.amdhsa_reserve_flat_scratch 0
		.amdhsa_float_round_mode_32 0
		.amdhsa_float_round_mode_16_64 0
		.amdhsa_float_denorm_mode_32 3
		.amdhsa_float_denorm_mode_16_64 3
		.amdhsa_dx10_clamp 1
		.amdhsa_ieee_mode 1
		.amdhsa_fp16_overflow 0
		.amdhsa_workgroup_processor_mode 1
		.amdhsa_memory_ordered 1
		.amdhsa_forward_progress 1
		.amdhsa_shared_vgpr_count 0
		.amdhsa_exception_fp_ieee_invalid_op 0
		.amdhsa_exception_fp_denorm_src 0
		.amdhsa_exception_fp_ieee_div_zero 0
		.amdhsa_exception_fp_ieee_overflow 0
		.amdhsa_exception_fp_ieee_underflow 0
		.amdhsa_exception_fp_ieee_inexact 0
		.amdhsa_exception_int_div_zero 0
	.end_amdhsa_kernel
	.section	.text._ZN2at6native41tensor_kernel_scan_outer_dim_with_indicesIlSt10less_equalIlEEEvPKT_PS4_PljjjS4_T0_,"axG",@progbits,_ZN2at6native41tensor_kernel_scan_outer_dim_with_indicesIlSt10less_equalIlEEEvPKT_PS4_PljjjS4_T0_,comdat
.Lfunc_end27:
	.size	_ZN2at6native41tensor_kernel_scan_outer_dim_with_indicesIlSt10less_equalIlEEEvPKT_PS4_PljjjS4_T0_, .Lfunc_end27-_ZN2at6native41tensor_kernel_scan_outer_dim_with_indicesIlSt10less_equalIlEEEvPKT_PS4_PljjjS4_T0_
                                        ; -- End function
	.set _ZN2at6native41tensor_kernel_scan_outer_dim_with_indicesIlSt10less_equalIlEEEvPKT_PS4_PljjjS4_T0_.num_vgpr, 15
	.set _ZN2at6native41tensor_kernel_scan_outer_dim_with_indicesIlSt10less_equalIlEEEvPKT_PS4_PljjjS4_T0_.num_agpr, 0
	.set _ZN2at6native41tensor_kernel_scan_outer_dim_with_indicesIlSt10less_equalIlEEEvPKT_PS4_PljjjS4_T0_.numbered_sgpr, 32
	.set _ZN2at6native41tensor_kernel_scan_outer_dim_with_indicesIlSt10less_equalIlEEEvPKT_PS4_PljjjS4_T0_.num_named_barrier, 0
	.set _ZN2at6native41tensor_kernel_scan_outer_dim_with_indicesIlSt10less_equalIlEEEvPKT_PS4_PljjjS4_T0_.private_seg_size, 0
	.set _ZN2at6native41tensor_kernel_scan_outer_dim_with_indicesIlSt10less_equalIlEEEvPKT_PS4_PljjjS4_T0_.uses_vcc, 1
	.set _ZN2at6native41tensor_kernel_scan_outer_dim_with_indicesIlSt10less_equalIlEEEvPKT_PS4_PljjjS4_T0_.uses_flat_scratch, 0
	.set _ZN2at6native41tensor_kernel_scan_outer_dim_with_indicesIlSt10less_equalIlEEEvPKT_PS4_PljjjS4_T0_.has_dyn_sized_stack, 0
	.set _ZN2at6native41tensor_kernel_scan_outer_dim_with_indicesIlSt10less_equalIlEEEvPKT_PS4_PljjjS4_T0_.has_recursion, 0
	.set _ZN2at6native41tensor_kernel_scan_outer_dim_with_indicesIlSt10less_equalIlEEEvPKT_PS4_PljjjS4_T0_.has_indirect_call, 0
	.section	.AMDGPU.csdata,"",@progbits
; Kernel info:
; codeLenInByte = 484
; TotalNumSgprs: 34
; NumVgprs: 15
; ScratchSize: 0
; MemoryBound: 0
; FloatMode: 240
; IeeeMode: 1
; LDSByteSize: 0 bytes/workgroup (compile time only)
; SGPRBlocks: 0
; VGPRBlocks: 1
; NumSGPRsForWavesPerEU: 34
; NumVGPRsForWavesPerEU: 15
; Occupancy: 16
; WaveLimiterHint : 0
; COMPUTE_PGM_RSRC2:SCRATCH_EN: 0
; COMPUTE_PGM_RSRC2:USER_SGPR: 6
; COMPUTE_PGM_RSRC2:TRAP_HANDLER: 0
; COMPUTE_PGM_RSRC2:TGID_X_EN: 1
; COMPUTE_PGM_RSRC2:TGID_Y_EN: 1
; COMPUTE_PGM_RSRC2:TGID_Z_EN: 0
; COMPUTE_PGM_RSRC2:TIDIG_COMP_CNT: 0
	.section	.text._ZN2at6native45tensor_kernel_scan_innermost_dim_with_indicesIsSt10less_equalIsEEEvPKT_PS4_PliijjS4_T0_,"axG",@progbits,_ZN2at6native45tensor_kernel_scan_innermost_dim_with_indicesIsSt10less_equalIsEEEvPKT_PS4_PliijjS4_T0_,comdat
	.protected	_ZN2at6native45tensor_kernel_scan_innermost_dim_with_indicesIsSt10less_equalIsEEEvPKT_PS4_PliijjS4_T0_ ; -- Begin function _ZN2at6native45tensor_kernel_scan_innermost_dim_with_indicesIsSt10less_equalIsEEEvPKT_PS4_PliijjS4_T0_
	.globl	_ZN2at6native45tensor_kernel_scan_innermost_dim_with_indicesIsSt10less_equalIsEEEvPKT_PS4_PliijjS4_T0_
	.p2align	8
	.type	_ZN2at6native45tensor_kernel_scan_innermost_dim_with_indicesIsSt10less_equalIsEEEvPKT_PS4_PliijjS4_T0_,@function
_ZN2at6native45tensor_kernel_scan_innermost_dim_with_indicesIsSt10less_equalIsEEEvPKT_PS4_PliijjS4_T0_: ; @_ZN2at6native45tensor_kernel_scan_innermost_dim_with_indicesIsSt10less_equalIsEEEvPKT_PS4_PliijjS4_T0_
; %bb.0:
	s_clause 0x1
	s_load_dword s2, s[4:5], 0x3c
	s_load_dwordx4 s[8:11], s[4:5], 0x18
	s_add_u32 s0, s4, 48
	s_addc_u32 s1, s5, 0
	s_waitcnt lgkmcnt(0)
	s_lshr_b32 s2, s2, 16
	s_mul_i32 s3, s6, s2
	s_cmp_ge_i32 s3, s8
	s_cbranch_scc1 .LBB28_31
; %bb.1:
	s_lshl_b32 s6, 2, s11
	s_clause 0x2
	s_load_dword s7, s[4:5], 0x28
	s_load_dwordx4 s[12:15], s[4:5], 0x0
	s_load_dwordx2 s[4:5], s[4:5], 0x10
	s_load_dword s16, s[0:1], 0x0
	v_mul_lo_u32 v2, s6, v1
	s_lshl_b32 s0, s10, 2
	s_lshl_b32 s10, 1, s11
	s_cmp_gt_i32 s9, 0
	s_cselect_b32 s11, -1, 0
	s_add_i32 s1, s6, -1
	v_lshlrev_b32_e32 v3, 3, v2
	v_lshl_add_u32 v8, v2, 1, 0
	v_add3_u32 v9, 0, s0, v3
	v_lshl_add_u32 v10, v0, 1, v8
	v_cmp_eq_u32_e64 s0, 0, v0
	v_lshl_add_u32 v12, s1, 1, v8
	v_lshl_add_u32 v11, v0, 3, v9
	;; [unrolled: 1-line block ×4, first 2 shown]
	s_waitcnt lgkmcnt(0)
	s_mul_i32 s16, s16, s2
	v_lshl_add_u32 v15, s10, 3, v11
	s_branch .LBB28_3
.LBB28_2:                               ;   in Loop: Header=BB28_3 Depth=1
	s_add_i32 s3, s16, s3
	s_cmp_ge_i32 s3, s8
	s_cbranch_scc1 .LBB28_31
.LBB28_3:                               ; =>This Loop Header: Depth=1
                                        ;     Child Loop BB28_6 Depth 2
                                        ;       Child Loop BB28_21 Depth 3
	s_andn2_b32 vcc_lo, exec_lo, s11
	s_cbranch_vccnz .LBB28_2
; %bb.4:                                ;   in Loop: Header=BB28_3 Depth=1
	v_add_nc_u32_e32 v16, s3, v1
	v_mov_b32_e32 v6, 0
	v_mov_b32_e32 v7, 0
	;; [unrolled: 1-line block ×3, first 2 shown]
	s_mov_b32 s17, 0
	v_mul_lo_u32 v2, v16, s9
	v_cmp_gt_i32_e32 vcc_lo, s8, v16
	v_cmp_le_i32_e64 s1, s8, v16
	v_ashrrev_i32_e32 v3, 31, v2
	v_lshlrev_b64 v[4:5], 1, v[2:3]
	v_lshlrev_b64 v[2:3], 3, v[2:3]
	v_add_co_u32 v16, s2, s12, v4
	v_add_co_ci_u32_e64 v17, null, s13, v5, s2
	v_add_co_u32 v18, s2, s14, v4
	v_add_co_ci_u32_e64 v19, null, s15, v5, s2
	;; [unrolled: 2-line block ×3, first 2 shown]
	s_branch .LBB28_6
.LBB28_5:                               ;   in Loop: Header=BB28_6 Depth=2
	s_or_b32 exec_lo, exec_lo, s18
	ds_read_u16 v22, v12
	ds_read_b64 v[6:7], v14
	s_add_i32 s17, s17, s6
	s_waitcnt lgkmcnt(0)
	s_waitcnt_vscnt null, 0x0
	s_cmp_ge_i32 s17, s9
	s_barrier
	buffer_gl0_inv
	s_cbranch_scc1 .LBB28_2
.LBB28_6:                               ;   Parent Loop BB28_3 Depth=1
                                        ; =>  This Loop Header: Depth=2
                                        ;       Child Loop BB28_21 Depth 3
	v_add_nc_u32_e32 v4, s17, v0
	v_add_nc_u32_e32 v2, s10, v4
	s_and_saveexec_b32 s18, vcc_lo
	s_cbranch_execz .LBB28_18
; %bb.7:                                ;   in Loop: Header=BB28_6 Depth=2
	v_cmp_le_i32_e64 s2, s9, v4
	s_and_saveexec_b32 s19, s2
	s_xor_b32 s2, exec_lo, s19
; %bb.8:                                ;   in Loop: Header=BB28_6 Depth=2
	v_mov_b32_e32 v3, s7
	ds_write_b16 v10, v3
; %bb.9:                                ;   in Loop: Header=BB28_6 Depth=2
	s_andn2_saveexec_b32 s19, s2
	s_cbranch_execz .LBB28_11
; %bb.10:                               ;   in Loop: Header=BB28_6 Depth=2
	v_ashrrev_i32_e32 v5, 31, v4
	v_lshlrev_b64 v[23:24], 1, v[4:5]
	v_add_co_u32 v23, s2, v16, v23
	v_add_co_ci_u32_e64 v24, null, v17, v24, s2
	global_load_ushort v3, v[23:24], off
	s_waitcnt vmcnt(0)
	ds_write_b16 v10, v3
	ds_write_b64 v11, v[4:5]
.LBB28_11:                              ;   in Loop: Header=BB28_6 Depth=2
	s_or_b32 exec_lo, exec_lo, s19
	v_cmp_le_i32_e64 s2, s9, v2
	s_and_saveexec_b32 s19, s2
	s_xor_b32 s2, exec_lo, s19
	s_cbranch_execnz .LBB28_14
; %bb.12:                               ;   in Loop: Header=BB28_6 Depth=2
	s_andn2_saveexec_b32 s19, s2
	s_cbranch_execnz .LBB28_15
.LBB28_13:                              ;   in Loop: Header=BB28_6 Depth=2
	s_or_b32 exec_lo, exec_lo, s19
	s_and_b32 exec_lo, exec_lo, s0
	s_cbranch_execnz .LBB28_16
	s_branch .LBB28_18
.LBB28_14:                              ;   in Loop: Header=BB28_6 Depth=2
	v_mov_b32_e32 v3, s7
	ds_write_b16 v13, v3
	s_andn2_saveexec_b32 s19, s2
	s_cbranch_execz .LBB28_13
.LBB28_15:                              ;   in Loop: Header=BB28_6 Depth=2
	v_ashrrev_i32_e32 v3, 31, v2
	v_lshlrev_b64 v[23:24], 1, v[2:3]
	v_add_co_u32 v23, s2, v16, v23
	v_add_co_ci_u32_e64 v24, null, v17, v24, s2
	global_load_ushort v5, v[23:24], off
	s_waitcnt vmcnt(0)
	ds_write_b16 v13, v5
	ds_write_b64 v15, v[2:3]
	s_or_b32 exec_lo, exec_lo, s19
	s_and_b32 exec_lo, exec_lo, s0
	s_cbranch_execz .LBB28_18
.LBB28_16:                              ;   in Loop: Header=BB28_6 Depth=2
	ds_read_u16 v3, v8
	s_waitcnt lgkmcnt(0)
	v_cmp_gt_i16_e64 s2, v3, v22
	s_and_b32 exec_lo, exec_lo, s2
	s_cbranch_execz .LBB28_18
; %bb.17:                               ;   in Loop: Header=BB28_6 Depth=2
	ds_write_b16 v8, v22
	ds_write_b64 v9, v[6:7]
.LBB28_18:                              ;   in Loop: Header=BB28_6 Depth=2
	s_or_b32 exec_lo, exec_lo, s18
	v_mov_b32_e32 v3, 1
	s_mov_b32 s18, 0
	s_waitcnt lgkmcnt(0)
	s_barrier
	buffer_gl0_inv
	s_inst_prefetch 0x1
	s_branch .LBB28_21
	.p2align	6
.LBB28_19:                              ;   in Loop: Header=BB28_21 Depth=3
	s_or_b32 exec_lo, exec_lo, s20
	v_mov_b32_e32 v3, v5
.LBB28_20:                              ;   in Loop: Header=BB28_21 Depth=3
	s_or_b32 exec_lo, exec_lo, s19
	v_cmp_lt_u32_e64 s2, s10, v3
	s_waitcnt lgkmcnt(0)
	s_barrier
	buffer_gl0_inv
	s_or_b32 s18, s2, s18
	s_andn2_b32 exec_lo, exec_lo, s18
	s_cbranch_execz .LBB28_26
.LBB28_21:                              ;   Parent Loop BB28_3 Depth=1
                                        ;     Parent Loop BB28_6 Depth=2
                                        ; =>    This Inner Loop Header: Depth=3
	v_lshlrev_b32_e32 v5, 1, v3
	s_and_saveexec_b32 s2, s1
	s_xor_b32 s2, exec_lo, s2
; %bb.22:                               ;   in Loop: Header=BB28_21 Depth=3
	v_lshlrev_b32_e32 v3, 1, v3
                                        ; implicit-def: $vgpr5
; %bb.23:                               ;   in Loop: Header=BB28_21 Depth=3
	s_andn2_saveexec_b32 s19, s2
	s_cbranch_execz .LBB28_20
; %bb.24:                               ;   in Loop: Header=BB28_21 Depth=3
	v_ffbl_b32_e32 v6, v3
	v_add_nc_u32_e32 v7, -1, v3
	s_mov_b32 s20, exec_lo
	v_lshrrev_b32_e32 v6, v6, v0
	v_mad_u64_u32 v[22:23], null, v5, v6, v[3:4]
	v_and_b32_e32 v3, v7, v0
	v_add_nc_u32_e32 v6, -1, v22
	v_add_nc_u32_e32 v3, v22, v3
	v_lshl_add_u32 v22, v6, 1, v8
	v_lshl_add_u32 v7, v3, 1, v8
	ds_read_u16 v22, v22
	ds_read_u16 v23, v7
	s_waitcnt lgkmcnt(0)
	v_cmpx_gt_i16_e64 v23, v22
	s_cbranch_execz .LBB28_19
; %bb.25:                               ;   in Loop: Header=BB28_21 Depth=3
	v_lshl_add_u32 v6, v6, 3, v9
	v_lshl_add_u32 v3, v3, 3, v9
	ds_read_b64 v[23:24], v6
	ds_write_b16 v7, v22
	s_waitcnt lgkmcnt(1)
	ds_write_b64 v3, v[23:24]
	s_branch .LBB28_19
.LBB28_26:                              ;   in Loop: Header=BB28_6 Depth=2
	s_inst_prefetch 0x2
	s_or_b32 exec_lo, exec_lo, s18
	s_and_saveexec_b32 s18, vcc_lo
	s_cbranch_execz .LBB28_5
; %bb.27:                               ;   in Loop: Header=BB28_6 Depth=2
	s_mov_b32 s19, exec_lo
	v_cmpx_gt_i32_e64 s9, v4
	s_cbranch_execz .LBB28_29
; %bb.28:                               ;   in Loop: Header=BB28_6 Depth=2
	ds_read_u16 v24, v10
	ds_read_b64 v[6:7], v11
	v_ashrrev_i32_e32 v5, 31, v4
	v_lshlrev_b64 v[22:23], 1, v[4:5]
	v_lshlrev_b64 v[3:4], 3, v[4:5]
	v_add_co_u32 v22, s2, v18, v22
	v_add_co_ci_u32_e64 v23, null, v19, v23, s2
	v_add_co_u32 v3, s2, v20, v3
	v_add_co_ci_u32_e64 v4, null, v21, v4, s2
	s_waitcnt lgkmcnt(1)
	global_store_short v[22:23], v24, off
	s_waitcnt lgkmcnt(0)
	global_store_dwordx2 v[3:4], v[6:7], off
.LBB28_29:                              ;   in Loop: Header=BB28_6 Depth=2
	s_or_b32 exec_lo, exec_lo, s19
	v_cmp_gt_i32_e64 s2, s9, v2
	s_and_b32 exec_lo, exec_lo, s2
	s_cbranch_execz .LBB28_5
; %bb.30:                               ;   in Loop: Header=BB28_6 Depth=2
	ds_read_u16 v22, v13
	ds_read_b64 v[4:5], v15
	v_ashrrev_i32_e32 v3, 31, v2
	v_lshlrev_b64 v[6:7], 1, v[2:3]
	v_lshlrev_b64 v[2:3], 3, v[2:3]
	v_add_co_u32 v6, s2, v18, v6
	v_add_co_ci_u32_e64 v7, null, v19, v7, s2
	v_add_co_u32 v2, s2, v20, v2
	v_add_co_ci_u32_e64 v3, null, v21, v3, s2
	s_waitcnt lgkmcnt(1)
	global_store_short v[6:7], v22, off
	s_waitcnt lgkmcnt(0)
	global_store_dwordx2 v[2:3], v[4:5], off
	s_branch .LBB28_5
.LBB28_31:
	s_endpgm
	.section	.rodata,"a",@progbits
	.p2align	6, 0x0
	.amdhsa_kernel _ZN2at6native45tensor_kernel_scan_innermost_dim_with_indicesIsSt10less_equalIsEEEvPKT_PS4_PliijjS4_T0_
		.amdhsa_group_segment_fixed_size 0
		.amdhsa_private_segment_fixed_size 0
		.amdhsa_kernarg_size 304
		.amdhsa_user_sgpr_count 6
		.amdhsa_user_sgpr_private_segment_buffer 1
		.amdhsa_user_sgpr_dispatch_ptr 0
		.amdhsa_user_sgpr_queue_ptr 0
		.amdhsa_user_sgpr_kernarg_segment_ptr 1
		.amdhsa_user_sgpr_dispatch_id 0
		.amdhsa_user_sgpr_flat_scratch_init 0
		.amdhsa_user_sgpr_private_segment_size 0
		.amdhsa_wavefront_size32 1
		.amdhsa_uses_dynamic_stack 0
		.amdhsa_system_sgpr_private_segment_wavefront_offset 0
		.amdhsa_system_sgpr_workgroup_id_x 1
		.amdhsa_system_sgpr_workgroup_id_y 0
		.amdhsa_system_sgpr_workgroup_id_z 0
		.amdhsa_system_sgpr_workgroup_info 0
		.amdhsa_system_vgpr_workitem_id 1
		.amdhsa_next_free_vgpr 25
		.amdhsa_next_free_sgpr 21
		.amdhsa_reserve_vcc 1
		.amdhsa_reserve_flat_scratch 0
		.amdhsa_float_round_mode_32 0
		.amdhsa_float_round_mode_16_64 0
		.amdhsa_float_denorm_mode_32 3
		.amdhsa_float_denorm_mode_16_64 3
		.amdhsa_dx10_clamp 1
		.amdhsa_ieee_mode 1
		.amdhsa_fp16_overflow 0
		.amdhsa_workgroup_processor_mode 1
		.amdhsa_memory_ordered 1
		.amdhsa_forward_progress 1
		.amdhsa_shared_vgpr_count 0
		.amdhsa_exception_fp_ieee_invalid_op 0
		.amdhsa_exception_fp_denorm_src 0
		.amdhsa_exception_fp_ieee_div_zero 0
		.amdhsa_exception_fp_ieee_overflow 0
		.amdhsa_exception_fp_ieee_underflow 0
		.amdhsa_exception_fp_ieee_inexact 0
		.amdhsa_exception_int_div_zero 0
	.end_amdhsa_kernel
	.section	.text._ZN2at6native45tensor_kernel_scan_innermost_dim_with_indicesIsSt10less_equalIsEEEvPKT_PS4_PliijjS4_T0_,"axG",@progbits,_ZN2at6native45tensor_kernel_scan_innermost_dim_with_indicesIsSt10less_equalIsEEEvPKT_PS4_PliijjS4_T0_,comdat
.Lfunc_end28:
	.size	_ZN2at6native45tensor_kernel_scan_innermost_dim_with_indicesIsSt10less_equalIsEEEvPKT_PS4_PliijjS4_T0_, .Lfunc_end28-_ZN2at6native45tensor_kernel_scan_innermost_dim_with_indicesIsSt10less_equalIsEEEvPKT_PS4_PliijjS4_T0_
                                        ; -- End function
	.set _ZN2at6native45tensor_kernel_scan_innermost_dim_with_indicesIsSt10less_equalIsEEEvPKT_PS4_PliijjS4_T0_.num_vgpr, 25
	.set _ZN2at6native45tensor_kernel_scan_innermost_dim_with_indicesIsSt10less_equalIsEEEvPKT_PS4_PliijjS4_T0_.num_agpr, 0
	.set _ZN2at6native45tensor_kernel_scan_innermost_dim_with_indicesIsSt10less_equalIsEEEvPKT_PS4_PliijjS4_T0_.numbered_sgpr, 21
	.set _ZN2at6native45tensor_kernel_scan_innermost_dim_with_indicesIsSt10less_equalIsEEEvPKT_PS4_PliijjS4_T0_.num_named_barrier, 0
	.set _ZN2at6native45tensor_kernel_scan_innermost_dim_with_indicesIsSt10less_equalIsEEEvPKT_PS4_PliijjS4_T0_.private_seg_size, 0
	.set _ZN2at6native45tensor_kernel_scan_innermost_dim_with_indicesIsSt10less_equalIsEEEvPKT_PS4_PliijjS4_T0_.uses_vcc, 1
	.set _ZN2at6native45tensor_kernel_scan_innermost_dim_with_indicesIsSt10less_equalIsEEEvPKT_PS4_PliijjS4_T0_.uses_flat_scratch, 0
	.set _ZN2at6native45tensor_kernel_scan_innermost_dim_with_indicesIsSt10less_equalIsEEEvPKT_PS4_PliijjS4_T0_.has_dyn_sized_stack, 0
	.set _ZN2at6native45tensor_kernel_scan_innermost_dim_with_indicesIsSt10less_equalIsEEEvPKT_PS4_PliijjS4_T0_.has_recursion, 0
	.set _ZN2at6native45tensor_kernel_scan_innermost_dim_with_indicesIsSt10less_equalIsEEEvPKT_PS4_PliijjS4_T0_.has_indirect_call, 0
	.section	.AMDGPU.csdata,"",@progbits
; Kernel info:
; codeLenInByte = 1216
; TotalNumSgprs: 23
; NumVgprs: 25
; ScratchSize: 0
; MemoryBound: 0
; FloatMode: 240
; IeeeMode: 1
; LDSByteSize: 0 bytes/workgroup (compile time only)
; SGPRBlocks: 0
; VGPRBlocks: 3
; NumSGPRsForWavesPerEU: 23
; NumVGPRsForWavesPerEU: 25
; Occupancy: 16
; WaveLimiterHint : 0
; COMPUTE_PGM_RSRC2:SCRATCH_EN: 0
; COMPUTE_PGM_RSRC2:USER_SGPR: 6
; COMPUTE_PGM_RSRC2:TRAP_HANDLER: 0
; COMPUTE_PGM_RSRC2:TGID_X_EN: 1
; COMPUTE_PGM_RSRC2:TGID_Y_EN: 0
; COMPUTE_PGM_RSRC2:TGID_Z_EN: 0
; COMPUTE_PGM_RSRC2:TIDIG_COMP_CNT: 1
	.section	.text._ZN2at6native41tensor_kernel_scan_outer_dim_with_indicesIsSt10less_equalIsEEEvPKT_PS4_PljjjS4_T0_,"axG",@progbits,_ZN2at6native41tensor_kernel_scan_outer_dim_with_indicesIsSt10less_equalIsEEEvPKT_PS4_PljjjS4_T0_,comdat
	.protected	_ZN2at6native41tensor_kernel_scan_outer_dim_with_indicesIsSt10less_equalIsEEEvPKT_PS4_PljjjS4_T0_ ; -- Begin function _ZN2at6native41tensor_kernel_scan_outer_dim_with_indicesIsSt10less_equalIsEEEvPKT_PS4_PljjjS4_T0_
	.globl	_ZN2at6native41tensor_kernel_scan_outer_dim_with_indicesIsSt10less_equalIsEEEvPKT_PS4_PljjjS4_T0_
	.p2align	8
	.type	_ZN2at6native41tensor_kernel_scan_outer_dim_with_indicesIsSt10less_equalIsEEEvPKT_PS4_PljjjS4_T0_,@function
_ZN2at6native41tensor_kernel_scan_outer_dim_with_indicesIsSt10less_equalIsEEEvPKT_PS4_PljjjS4_T0_: ; @_ZN2at6native41tensor_kernel_scan_outer_dim_with_indicesIsSt10less_equalIsEEEvPKT_PS4_PljjjS4_T0_
; %bb.0:
	s_load_dwordx4 s[8:11], s[4:5], 0x18
	s_waitcnt lgkmcnt(0)
	s_cmp_ge_u32 s6, s8
	s_cbranch_scc1 .LBB29_9
; %bb.1:
	s_clause 0x3
	s_load_dword s0, s[4:5], 0x34
	s_load_dword s1, s[4:5], 0x28
	s_load_dwordx4 s[12:15], s[4:5], 0x0
	s_load_dwordx2 s[2:3], s[4:5], 0x10
	s_add_u32 s4, s4, 40
	s_addc_u32 s5, s5, 0
	s_mul_i32 s18, s6, s10
	v_mov_b32_e32 v2, 0
	s_mov_b32 s17, 0
	s_mov_b32 s16, s9
	s_mul_i32 s22, s18, s9
	s_waitcnt lgkmcnt(0)
	s_and_b32 s26, s0, 0xffff
	s_cmp_lg_u32 s10, 0
	v_mad_u64_u32 v[0:1], null, s7, s26, v[0:1]
	s_mul_i32 s7, s1, s10
	s_cselect_b32 s27, -1, 0
	s_mul_i32 s7, s7, s9
	s_lshl_b64 s[18:19], s[16:17], 3
	s_lshl_b64 s[20:21], s[16:17], 1
	s_mov_b32 s16, s22
	v_cmp_gt_u32_e64 s0, s9, v0
	s_branch .LBB29_3
.LBB29_2:                               ;   in Loop: Header=BB29_3 Depth=1
	s_or_b32 exec_lo, exec_lo, s28
	s_add_i32 s6, s1, s6
	s_add_i32 s16, s16, s7
	s_cmp_ge_u32 s6, s8
	s_cbranch_scc1 .LBB29_9
.LBB29_3:                               ; =>This Loop Header: Depth=1
                                        ;     Child Loop BB29_6 Depth 2
                                        ;       Child Loop BB29_8 Depth 3
	s_and_saveexec_b32 s28, s0
	s_cbranch_execz .LBB29_2
; %bb.4:                                ;   in Loop: Header=BB29_3 Depth=1
	s_load_dword s31, s[4:5], 0x4
	s_lshl_b64 s[24:25], s[16:17], 3
	v_mov_b32_e32 v1, v0
	s_lshl_b64 s[22:23], s[16:17], 1
	s_add_u32 s29, s2, s24
	s_addc_u32 s30, s3, s25
	s_mov_b32 s33, 0
	s_waitcnt lgkmcnt(0)
	s_mul_i32 s31, s31, s26
	s_branch .LBB29_6
.LBB29_5:                               ;   in Loop: Header=BB29_6 Depth=2
	v_add_nc_u32_e32 v1, s31, v1
	v_cmp_le_u32_e32 vcc_lo, s9, v1
	s_or_b32 s33, vcc_lo, s33
	s_andn2_b32 exec_lo, exec_lo, s33
	s_cbranch_execz .LBB29_2
.LBB29_6:                               ;   Parent Loop BB29_3 Depth=1
                                        ; =>  This Loop Header: Depth=2
                                        ;       Child Loop BB29_8 Depth 3
	s_andn2_b32 vcc_lo, exec_lo, s27
	s_cbranch_vccnz .LBB29_5
; %bb.7:                                ;   in Loop: Header=BB29_6 Depth=2
	v_lshlrev_b64 v[3:4], 3, v[1:2]
	v_lshlrev_b64 v[5:6], 1, v[1:2]
	v_mov_b32_e32 v9, s11
	s_mov_b64 s[24:25], 0
	v_add_co_u32 v3, vcc_lo, s29, v3
	v_add_co_ci_u32_e64 v4, null, s30, v4, vcc_lo
	v_add_co_u32 v7, vcc_lo, s22, v5
	v_add_co_ci_u32_e64 v8, null, s23, v6, vcc_lo
	v_mov_b32_e32 v5, 0
	v_mov_b32_e32 v6, 0
	.p2align	6
.LBB29_8:                               ;   Parent Loop BB29_3 Depth=1
                                        ;     Parent Loop BB29_6 Depth=2
                                        ; =>    This Inner Loop Header: Depth=3
	v_add_co_u32 v10, vcc_lo, s12, v7
	v_add_co_ci_u32_e64 v11, null, s13, v8, vcc_lo
	global_load_ushort v12, v[10:11], off
	v_add_co_u32 v10, vcc_lo, s14, v7
	v_add_co_ci_u32_e64 v11, null, s15, v8, vcc_lo
	v_add_co_u32 v7, vcc_lo, v7, s20
	v_add_co_ci_u32_e64 v8, null, s21, v8, vcc_lo
	s_waitcnt vmcnt(0)
	v_cmp_gt_i16_e32 vcc_lo, v12, v9
	v_min_i16 v9, v12, v9
	v_cndmask_b32_e32 v6, s25, v6, vcc_lo
	v_cndmask_b32_e32 v5, s24, v5, vcc_lo
	s_add_u32 s24, s24, 1
	s_addc_u32 s25, s25, 0
	s_cmp_eq_u32 s10, s24
	global_store_short v[10:11], v9, off
	global_store_dwordx2 v[3:4], v[5:6], off
	v_add_co_u32 v3, vcc_lo, v3, s18
	v_add_co_ci_u32_e64 v4, null, s19, v4, vcc_lo
	s_cbranch_scc0 .LBB29_8
	s_branch .LBB29_5
.LBB29_9:
	s_endpgm
	.section	.rodata,"a",@progbits
	.p2align	6, 0x0
	.amdhsa_kernel _ZN2at6native41tensor_kernel_scan_outer_dim_with_indicesIsSt10less_equalIsEEEvPKT_PS4_PljjjS4_T0_
		.amdhsa_group_segment_fixed_size 0
		.amdhsa_private_segment_fixed_size 0
		.amdhsa_kernarg_size 296
		.amdhsa_user_sgpr_count 6
		.amdhsa_user_sgpr_private_segment_buffer 1
		.amdhsa_user_sgpr_dispatch_ptr 0
		.amdhsa_user_sgpr_queue_ptr 0
		.amdhsa_user_sgpr_kernarg_segment_ptr 1
		.amdhsa_user_sgpr_dispatch_id 0
		.amdhsa_user_sgpr_flat_scratch_init 0
		.amdhsa_user_sgpr_private_segment_size 0
		.amdhsa_wavefront_size32 1
		.amdhsa_uses_dynamic_stack 0
		.amdhsa_system_sgpr_private_segment_wavefront_offset 0
		.amdhsa_system_sgpr_workgroup_id_x 1
		.amdhsa_system_sgpr_workgroup_id_y 1
		.amdhsa_system_sgpr_workgroup_id_z 0
		.amdhsa_system_sgpr_workgroup_info 0
		.amdhsa_system_vgpr_workitem_id 0
		.amdhsa_next_free_vgpr 13
		.amdhsa_next_free_sgpr 34
		.amdhsa_reserve_vcc 1
		.amdhsa_reserve_flat_scratch 0
		.amdhsa_float_round_mode_32 0
		.amdhsa_float_round_mode_16_64 0
		.amdhsa_float_denorm_mode_32 3
		.amdhsa_float_denorm_mode_16_64 3
		.amdhsa_dx10_clamp 1
		.amdhsa_ieee_mode 1
		.amdhsa_fp16_overflow 0
		.amdhsa_workgroup_processor_mode 1
		.amdhsa_memory_ordered 1
		.amdhsa_forward_progress 1
		.amdhsa_shared_vgpr_count 0
		.amdhsa_exception_fp_ieee_invalid_op 0
		.amdhsa_exception_fp_denorm_src 0
		.amdhsa_exception_fp_ieee_div_zero 0
		.amdhsa_exception_fp_ieee_overflow 0
		.amdhsa_exception_fp_ieee_underflow 0
		.amdhsa_exception_fp_ieee_inexact 0
		.amdhsa_exception_int_div_zero 0
	.end_amdhsa_kernel
	.section	.text._ZN2at6native41tensor_kernel_scan_outer_dim_with_indicesIsSt10less_equalIsEEEvPKT_PS4_PljjjS4_T0_,"axG",@progbits,_ZN2at6native41tensor_kernel_scan_outer_dim_with_indicesIsSt10less_equalIsEEEvPKT_PS4_PljjjS4_T0_,comdat
.Lfunc_end29:
	.size	_ZN2at6native41tensor_kernel_scan_outer_dim_with_indicesIsSt10less_equalIsEEEvPKT_PS4_PljjjS4_T0_, .Lfunc_end29-_ZN2at6native41tensor_kernel_scan_outer_dim_with_indicesIsSt10less_equalIsEEEvPKT_PS4_PljjjS4_T0_
                                        ; -- End function
	.set _ZN2at6native41tensor_kernel_scan_outer_dim_with_indicesIsSt10less_equalIsEEEvPKT_PS4_PljjjS4_T0_.num_vgpr, 13
	.set _ZN2at6native41tensor_kernel_scan_outer_dim_with_indicesIsSt10less_equalIsEEEvPKT_PS4_PljjjS4_T0_.num_agpr, 0
	.set _ZN2at6native41tensor_kernel_scan_outer_dim_with_indicesIsSt10less_equalIsEEEvPKT_PS4_PljjjS4_T0_.numbered_sgpr, 34
	.set _ZN2at6native41tensor_kernel_scan_outer_dim_with_indicesIsSt10less_equalIsEEEvPKT_PS4_PljjjS4_T0_.num_named_barrier, 0
	.set _ZN2at6native41tensor_kernel_scan_outer_dim_with_indicesIsSt10less_equalIsEEEvPKT_PS4_PljjjS4_T0_.private_seg_size, 0
	.set _ZN2at6native41tensor_kernel_scan_outer_dim_with_indicesIsSt10less_equalIsEEEvPKT_PS4_PljjjS4_T0_.uses_vcc, 1
	.set _ZN2at6native41tensor_kernel_scan_outer_dim_with_indicesIsSt10less_equalIsEEEvPKT_PS4_PljjjS4_T0_.uses_flat_scratch, 0
	.set _ZN2at6native41tensor_kernel_scan_outer_dim_with_indicesIsSt10less_equalIsEEEvPKT_PS4_PljjjS4_T0_.has_dyn_sized_stack, 0
	.set _ZN2at6native41tensor_kernel_scan_outer_dim_with_indicesIsSt10less_equalIsEEEvPKT_PS4_PljjjS4_T0_.has_recursion, 0
	.set _ZN2at6native41tensor_kernel_scan_outer_dim_with_indicesIsSt10less_equalIsEEEvPKT_PS4_PljjjS4_T0_.has_indirect_call, 0
	.section	.AMDGPU.csdata,"",@progbits
; Kernel info:
; codeLenInByte = 456
; TotalNumSgprs: 36
; NumVgprs: 13
; ScratchSize: 0
; MemoryBound: 0
; FloatMode: 240
; IeeeMode: 1
; LDSByteSize: 0 bytes/workgroup (compile time only)
; SGPRBlocks: 0
; VGPRBlocks: 1
; NumSGPRsForWavesPerEU: 36
; NumVGPRsForWavesPerEU: 13
; Occupancy: 16
; WaveLimiterHint : 0
; COMPUTE_PGM_RSRC2:SCRATCH_EN: 0
; COMPUTE_PGM_RSRC2:USER_SGPR: 6
; COMPUTE_PGM_RSRC2:TRAP_HANDLER: 0
; COMPUTE_PGM_RSRC2:TGID_X_EN: 1
; COMPUTE_PGM_RSRC2:TGID_Y_EN: 1
; COMPUTE_PGM_RSRC2:TGID_Z_EN: 0
; COMPUTE_PGM_RSRC2:TIDIG_COMP_CNT: 0
	.section	.text._ZN2at6native45tensor_kernel_scan_innermost_dim_with_indicesIdSt10less_equalIdEEEvPKT_PS4_PliijjS4_T0_,"axG",@progbits,_ZN2at6native45tensor_kernel_scan_innermost_dim_with_indicesIdSt10less_equalIdEEEvPKT_PS4_PliijjS4_T0_,comdat
	.protected	_ZN2at6native45tensor_kernel_scan_innermost_dim_with_indicesIdSt10less_equalIdEEEvPKT_PS4_PliijjS4_T0_ ; -- Begin function _ZN2at6native45tensor_kernel_scan_innermost_dim_with_indicesIdSt10less_equalIdEEEvPKT_PS4_PliijjS4_T0_
	.globl	_ZN2at6native45tensor_kernel_scan_innermost_dim_with_indicesIdSt10less_equalIdEEEvPKT_PS4_PliijjS4_T0_
	.p2align	8
	.type	_ZN2at6native45tensor_kernel_scan_innermost_dim_with_indicesIdSt10less_equalIdEEEvPKT_PS4_PliijjS4_T0_,@function
_ZN2at6native45tensor_kernel_scan_innermost_dim_with_indicesIdSt10less_equalIdEEEvPKT_PS4_PliijjS4_T0_: ; @_ZN2at6native45tensor_kernel_scan_innermost_dim_with_indicesIdSt10less_equalIdEEEvPKT_PS4_PliijjS4_T0_
; %bb.0:
	s_clause 0x1
	s_load_dword s2, s[4:5], 0x44
	s_load_dwordx4 s[8:11], s[4:5], 0x18
	s_add_u32 s0, s4, 56
	s_addc_u32 s1, s5, 0
	s_waitcnt lgkmcnt(0)
	s_lshr_b32 s2, s2, 16
	s_mul_i32 s16, s6, s2
	s_cmp_ge_i32 s16, s8
	s_cbranch_scc1 .LBB30_31
; %bb.1:
	s_lshl_b32 s17, 2, s11
	s_clause 0x2
	s_load_dwordx4 s[12:15], s[4:5], 0x0
	s_load_dwordx2 s[6:7], s[4:5], 0x10
	s_load_dwordx2 s[4:5], s[4:5], 0x28
	v_mul_lo_u32 v2, s17, v1
	s_load_dword s18, s[0:1], 0x0
	s_lshl_b32 s3, s10, 4
	v_lshlrev_b32_e32 v3, 3, v0
	s_lshl_b32 s10, 1, s11
	s_cmp_gt_i32 s9, 0
	v_cmp_eq_u32_e64 s0, 0, v0
	s_cselect_b32 s11, -1, 0
	v_lshlrev_b32_e32 v2, 3, v2
	s_lshl_b32 s1, s17, 3
	s_add_i32 s1, s1, -8
	v_add_nc_u32_e32 v10, 0, v2
	v_add3_u32 v11, 0, s3, v2
	s_lshl_b32 s3, s10, 3
	v_add_nc_u32_e32 v12, v10, v3
	v_add_nc_u32_e32 v13, v11, v3
	;; [unrolled: 1-line block ×4, first 2 shown]
	s_waitcnt lgkmcnt(0)
	s_mul_i32 s18, s18, s2
	v_add_nc_u32_e32 v16, s3, v12
	v_add_nc_u32_e32 v17, s3, v13
	s_branch .LBB30_3
.LBB30_2:                               ;   in Loop: Header=BB30_3 Depth=1
	s_add_i32 s16, s18, s16
	s_cmp_ge_i32 s16, s8
	s_cbranch_scc1 .LBB30_31
.LBB30_3:                               ; =>This Loop Header: Depth=1
                                        ;     Child Loop BB30_6 Depth 2
                                        ;       Child Loop BB30_21 Depth 3
	s_andn2_b32 vcc_lo, exec_lo, s11
	s_cbranch_vccnz .LBB30_2
; %bb.4:                                ;   in Loop: Header=BB30_3 Depth=1
	v_add_nc_u32_e32 v4, s16, v1
	v_mov_b32_e32 v6, 0
	v_mov_b32_e32 v9, s5
	;; [unrolled: 1-line block ×4, first 2 shown]
	v_mul_lo_u32 v2, v4, s9
	v_cmp_le_i32_e64 s1, s8, v4
	s_mov_b32 s19, 0
	v_cmp_gt_i32_e32 vcc_lo, s8, v4
	v_ashrrev_i32_e32 v3, 31, v2
	v_lshlrev_b64 v[2:3], 3, v[2:3]
	v_add_co_u32 v18, s2, s12, v2
	v_add_co_ci_u32_e64 v19, null, s13, v3, s2
	v_add_co_u32 v20, s2, s14, v2
	v_add_co_ci_u32_e64 v21, null, s15, v3, s2
	;; [unrolled: 2-line block ×3, first 2 shown]
	s_branch .LBB30_6
.LBB30_5:                               ;   in Loop: Header=BB30_6 Depth=2
	s_or_b32 exec_lo, exec_lo, s3
	ds_read_b64 v[8:9], v14
	ds_read_b64 v[6:7], v15
	s_add_i32 s19, s19, s17
	s_waitcnt lgkmcnt(0)
	s_waitcnt_vscnt null, 0x0
	s_cmp_ge_i32 s19, s9
	s_barrier
	buffer_gl0_inv
	s_cbranch_scc1 .LBB30_2
.LBB30_6:                               ;   Parent Loop BB30_3 Depth=1
                                        ; =>  This Loop Header: Depth=2
                                        ;       Child Loop BB30_21 Depth 3
	v_add_nc_u32_e32 v4, s19, v0
	v_add_nc_u32_e32 v2, s10, v4
	s_and_saveexec_b32 s20, vcc_lo
	s_cbranch_execz .LBB30_18
; %bb.7:                                ;   in Loop: Header=BB30_6 Depth=2
	v_cmp_le_i32_e64 s2, s9, v4
	s_and_saveexec_b32 s3, s2
	s_xor_b32 s2, exec_lo, s3
; %bb.8:                                ;   in Loop: Header=BB30_6 Depth=2
	v_mov_b32_e32 v25, s5
	v_mov_b32_e32 v24, s4
	ds_write_b64 v12, v[24:25]
; %bb.9:                                ;   in Loop: Header=BB30_6 Depth=2
	s_andn2_saveexec_b32 s3, s2
	s_cbranch_execz .LBB30_11
; %bb.10:                               ;   in Loop: Header=BB30_6 Depth=2
	v_ashrrev_i32_e32 v5, 31, v4
	v_lshlrev_b64 v[24:25], 3, v[4:5]
	v_add_co_u32 v24, s2, v18, v24
	v_add_co_ci_u32_e64 v25, null, v19, v25, s2
	global_load_dwordx2 v[24:25], v[24:25], off
	s_waitcnt vmcnt(0)
	ds_write_b64 v12, v[24:25]
	ds_write_b64 v13, v[4:5]
.LBB30_11:                              ;   in Loop: Header=BB30_6 Depth=2
	s_or_b32 exec_lo, exec_lo, s3
	v_cmp_le_i32_e64 s2, s9, v2
	s_and_saveexec_b32 s3, s2
	s_xor_b32 s2, exec_lo, s3
	s_cbranch_execnz .LBB30_14
; %bb.12:                               ;   in Loop: Header=BB30_6 Depth=2
	s_andn2_saveexec_b32 s3, s2
	s_cbranch_execnz .LBB30_15
.LBB30_13:                              ;   in Loop: Header=BB30_6 Depth=2
	s_or_b32 exec_lo, exec_lo, s3
	s_and_b32 exec_lo, exec_lo, s0
	s_cbranch_execnz .LBB30_16
	s_branch .LBB30_18
.LBB30_14:                              ;   in Loop: Header=BB30_6 Depth=2
	v_mov_b32_e32 v25, s5
	v_mov_b32_e32 v24, s4
	ds_write_b64 v16, v[24:25]
	s_andn2_saveexec_b32 s3, s2
	s_cbranch_execz .LBB30_13
.LBB30_15:                              ;   in Loop: Header=BB30_6 Depth=2
	v_ashrrev_i32_e32 v3, 31, v2
	v_lshlrev_b64 v[24:25], 3, v[2:3]
	v_add_co_u32 v24, s2, v18, v24
	v_add_co_ci_u32_e64 v25, null, v19, v25, s2
	global_load_dwordx2 v[24:25], v[24:25], off
	s_waitcnt vmcnt(0)
	ds_write_b64 v16, v[24:25]
	ds_write_b64 v17, v[2:3]
	s_or_b32 exec_lo, exec_lo, s3
	s_and_b32 exec_lo, exec_lo, s0
	s_cbranch_execz .LBB30_18
.LBB30_16:                              ;   in Loop: Header=BB30_6 Depth=2
	ds_read_b64 v[24:25], v10
	s_waitcnt lgkmcnt(0)
	v_cmp_o_f64_e64 s2, v[24:25], v[24:25]
	v_cmp_nle_f64_e64 s3, v[24:25], v[8:9]
	s_and_b32 s2, s2, s3
	s_and_b32 exec_lo, exec_lo, s2
	s_cbranch_execz .LBB30_18
; %bb.17:                               ;   in Loop: Header=BB30_6 Depth=2
	ds_write_b64 v10, v[8:9]
	ds_write_b64 v11, v[6:7]
.LBB30_18:                              ;   in Loop: Header=BB30_6 Depth=2
	s_or_b32 exec_lo, exec_lo, s20
	v_mov_b32_e32 v3, 1
	s_mov_b32 s20, 0
	s_waitcnt lgkmcnt(0)
	s_barrier
	buffer_gl0_inv
	s_branch .LBB30_21
.LBB30_19:                              ;   in Loop: Header=BB30_21 Depth=3
	s_or_b32 exec_lo, exec_lo, s2
	v_mov_b32_e32 v3, v7
.LBB30_20:                              ;   in Loop: Header=BB30_21 Depth=3
	s_or_b32 exec_lo, exec_lo, s21
	v_cmp_lt_u32_e64 s2, s10, v3
	s_waitcnt lgkmcnt(0)
	s_barrier
	buffer_gl0_inv
	s_or_b32 s20, s2, s20
	s_andn2_b32 exec_lo, exec_lo, s20
	s_cbranch_execz .LBB30_26
.LBB30_21:                              ;   Parent Loop BB30_3 Depth=1
                                        ;     Parent Loop BB30_6 Depth=2
                                        ; =>    This Inner Loop Header: Depth=3
	v_lshlrev_b32_e32 v7, 1, v3
	s_and_saveexec_b32 s2, s1
	s_xor_b32 s2, exec_lo, s2
; %bb.22:                               ;   in Loop: Header=BB30_21 Depth=3
	v_lshlrev_b32_e32 v3, 1, v3
                                        ; implicit-def: $vgpr7
; %bb.23:                               ;   in Loop: Header=BB30_21 Depth=3
	s_andn2_saveexec_b32 s21, s2
	s_cbranch_execz .LBB30_20
; %bb.24:                               ;   in Loop: Header=BB30_21 Depth=3
	v_ffbl_b32_e32 v5, v3
	v_add_nc_u32_e32 v8, -1, v3
	v_lshrrev_b32_e32 v5, v5, v0
	v_mad_u64_u32 v[5:6], null, v7, v5, v[3:4]
	v_and_b32_e32 v3, v8, v0
	v_add_nc_u32_e32 v3, v5, v3
	v_add_nc_u32_e32 v8, -1, v5
	v_lshl_add_u32 v9, v3, 3, v10
	v_lshl_add_u32 v5, v8, 3, v10
	ds_read_b64 v[24:25], v9
	ds_read_b64 v[5:6], v5
	s_waitcnt lgkmcnt(1)
	v_cmp_o_f64_e64 s2, v[24:25], v[24:25]
	s_waitcnt lgkmcnt(0)
	v_cmp_nle_f64_e64 s3, v[24:25], v[5:6]
	s_and_b32 s3, s2, s3
	s_and_saveexec_b32 s2, s3
	s_cbranch_execz .LBB30_19
; %bb.25:                               ;   in Loop: Header=BB30_21 Depth=3
	v_lshl_add_u32 v8, v8, 3, v11
	v_lshl_add_u32 v3, v3, 3, v11
	ds_read_b64 v[24:25], v8
	ds_write_b64 v9, v[5:6]
	s_waitcnt lgkmcnt(1)
	ds_write_b64 v3, v[24:25]
	s_branch .LBB30_19
.LBB30_26:                              ;   in Loop: Header=BB30_6 Depth=2
	s_or_b32 exec_lo, exec_lo, s20
	s_and_saveexec_b32 s3, vcc_lo
	s_cbranch_execz .LBB30_5
; %bb.27:                               ;   in Loop: Header=BB30_6 Depth=2
	s_mov_b32 s20, exec_lo
	v_cmpx_gt_i32_e64 s9, v4
	s_cbranch_execz .LBB30_29
; %bb.28:                               ;   in Loop: Header=BB30_6 Depth=2
	ds_read_b64 v[6:7], v12
	ds_read_b64 v[8:9], v13
	v_ashrrev_i32_e32 v5, 31, v4
	v_lshlrev_b64 v[3:4], 3, v[4:5]
	v_add_co_u32 v24, s2, v20, v3
	v_add_co_ci_u32_e64 v25, null, v21, v4, s2
	v_add_co_u32 v3, s2, v22, v3
	v_add_co_ci_u32_e64 v4, null, v23, v4, s2
	s_waitcnt lgkmcnt(1)
	global_store_dwordx2 v[24:25], v[6:7], off
	s_waitcnt lgkmcnt(0)
	global_store_dwordx2 v[3:4], v[8:9], off
.LBB30_29:                              ;   in Loop: Header=BB30_6 Depth=2
	s_or_b32 exec_lo, exec_lo, s20
	v_cmp_gt_i32_e64 s2, s9, v2
	s_and_b32 exec_lo, exec_lo, s2
	s_cbranch_execz .LBB30_5
; %bb.30:                               ;   in Loop: Header=BB30_6 Depth=2
	ds_read_b64 v[4:5], v16
	ds_read_b64 v[6:7], v17
	v_ashrrev_i32_e32 v3, 31, v2
	v_lshlrev_b64 v[2:3], 3, v[2:3]
	v_add_co_u32 v8, s2, v20, v2
	v_add_co_ci_u32_e64 v9, null, v21, v3, s2
	v_add_co_u32 v2, s2, v22, v2
	v_add_co_ci_u32_e64 v3, null, v23, v3, s2
	s_waitcnt lgkmcnt(1)
	global_store_dwordx2 v[8:9], v[4:5], off
	s_waitcnt lgkmcnt(0)
	global_store_dwordx2 v[2:3], v[6:7], off
	s_branch .LBB30_5
.LBB30_31:
	s_endpgm
	.section	.rodata,"a",@progbits
	.p2align	6, 0x0
	.amdhsa_kernel _ZN2at6native45tensor_kernel_scan_innermost_dim_with_indicesIdSt10less_equalIdEEEvPKT_PS4_PliijjS4_T0_
		.amdhsa_group_segment_fixed_size 0
		.amdhsa_private_segment_fixed_size 0
		.amdhsa_kernarg_size 312
		.amdhsa_user_sgpr_count 6
		.amdhsa_user_sgpr_private_segment_buffer 1
		.amdhsa_user_sgpr_dispatch_ptr 0
		.amdhsa_user_sgpr_queue_ptr 0
		.amdhsa_user_sgpr_kernarg_segment_ptr 1
		.amdhsa_user_sgpr_dispatch_id 0
		.amdhsa_user_sgpr_flat_scratch_init 0
		.amdhsa_user_sgpr_private_segment_size 0
		.amdhsa_wavefront_size32 1
		.amdhsa_uses_dynamic_stack 0
		.amdhsa_system_sgpr_private_segment_wavefront_offset 0
		.amdhsa_system_sgpr_workgroup_id_x 1
		.amdhsa_system_sgpr_workgroup_id_y 0
		.amdhsa_system_sgpr_workgroup_id_z 0
		.amdhsa_system_sgpr_workgroup_info 0
		.amdhsa_system_vgpr_workitem_id 1
		.amdhsa_next_free_vgpr 26
		.amdhsa_next_free_sgpr 22
		.amdhsa_reserve_vcc 1
		.amdhsa_reserve_flat_scratch 0
		.amdhsa_float_round_mode_32 0
		.amdhsa_float_round_mode_16_64 0
		.amdhsa_float_denorm_mode_32 3
		.amdhsa_float_denorm_mode_16_64 3
		.amdhsa_dx10_clamp 1
		.amdhsa_ieee_mode 1
		.amdhsa_fp16_overflow 0
		.amdhsa_workgroup_processor_mode 1
		.amdhsa_memory_ordered 1
		.amdhsa_forward_progress 1
		.amdhsa_shared_vgpr_count 0
		.amdhsa_exception_fp_ieee_invalid_op 0
		.amdhsa_exception_fp_denorm_src 0
		.amdhsa_exception_fp_ieee_div_zero 0
		.amdhsa_exception_fp_ieee_overflow 0
		.amdhsa_exception_fp_ieee_underflow 0
		.amdhsa_exception_fp_ieee_inexact 0
		.amdhsa_exception_int_div_zero 0
	.end_amdhsa_kernel
	.section	.text._ZN2at6native45tensor_kernel_scan_innermost_dim_with_indicesIdSt10less_equalIdEEEvPKT_PS4_PliijjS4_T0_,"axG",@progbits,_ZN2at6native45tensor_kernel_scan_innermost_dim_with_indicesIdSt10less_equalIdEEEvPKT_PS4_PliijjS4_T0_,comdat
.Lfunc_end30:
	.size	_ZN2at6native45tensor_kernel_scan_innermost_dim_with_indicesIdSt10less_equalIdEEEvPKT_PS4_PliijjS4_T0_, .Lfunc_end30-_ZN2at6native45tensor_kernel_scan_innermost_dim_with_indicesIdSt10less_equalIdEEEvPKT_PS4_PliijjS4_T0_
                                        ; -- End function
	.set _ZN2at6native45tensor_kernel_scan_innermost_dim_with_indicesIdSt10less_equalIdEEEvPKT_PS4_PliijjS4_T0_.num_vgpr, 26
	.set _ZN2at6native45tensor_kernel_scan_innermost_dim_with_indicesIdSt10less_equalIdEEEvPKT_PS4_PliijjS4_T0_.num_agpr, 0
	.set _ZN2at6native45tensor_kernel_scan_innermost_dim_with_indicesIdSt10less_equalIdEEEvPKT_PS4_PliijjS4_T0_.numbered_sgpr, 22
	.set _ZN2at6native45tensor_kernel_scan_innermost_dim_with_indicesIdSt10less_equalIdEEEvPKT_PS4_PliijjS4_T0_.num_named_barrier, 0
	.set _ZN2at6native45tensor_kernel_scan_innermost_dim_with_indicesIdSt10less_equalIdEEEvPKT_PS4_PliijjS4_T0_.private_seg_size, 0
	.set _ZN2at6native45tensor_kernel_scan_innermost_dim_with_indicesIdSt10less_equalIdEEEvPKT_PS4_PliijjS4_T0_.uses_vcc, 1
	.set _ZN2at6native45tensor_kernel_scan_innermost_dim_with_indicesIdSt10less_equalIdEEEvPKT_PS4_PliijjS4_T0_.uses_flat_scratch, 0
	.set _ZN2at6native45tensor_kernel_scan_innermost_dim_with_indicesIdSt10less_equalIdEEEvPKT_PS4_PliijjS4_T0_.has_dyn_sized_stack, 0
	.set _ZN2at6native45tensor_kernel_scan_innermost_dim_with_indicesIdSt10less_equalIdEEEvPKT_PS4_PliijjS4_T0_.has_recursion, 0
	.set _ZN2at6native45tensor_kernel_scan_innermost_dim_with_indicesIdSt10less_equalIdEEEvPKT_PS4_PliijjS4_T0_.has_indirect_call, 0
	.section	.AMDGPU.csdata,"",@progbits
; Kernel info:
; codeLenInByte = 1152
; TotalNumSgprs: 24
; NumVgprs: 26
; ScratchSize: 0
; MemoryBound: 0
; FloatMode: 240
; IeeeMode: 1
; LDSByteSize: 0 bytes/workgroup (compile time only)
; SGPRBlocks: 0
; VGPRBlocks: 3
; NumSGPRsForWavesPerEU: 24
; NumVGPRsForWavesPerEU: 26
; Occupancy: 16
; WaveLimiterHint : 0
; COMPUTE_PGM_RSRC2:SCRATCH_EN: 0
; COMPUTE_PGM_RSRC2:USER_SGPR: 6
; COMPUTE_PGM_RSRC2:TRAP_HANDLER: 0
; COMPUTE_PGM_RSRC2:TGID_X_EN: 1
; COMPUTE_PGM_RSRC2:TGID_Y_EN: 0
; COMPUTE_PGM_RSRC2:TGID_Z_EN: 0
; COMPUTE_PGM_RSRC2:TIDIG_COMP_CNT: 1
	.section	.text._ZN2at6native41tensor_kernel_scan_outer_dim_with_indicesIdSt10less_equalIdEEEvPKT_PS4_PljjjS4_T0_,"axG",@progbits,_ZN2at6native41tensor_kernel_scan_outer_dim_with_indicesIdSt10less_equalIdEEEvPKT_PS4_PljjjS4_T0_,comdat
	.protected	_ZN2at6native41tensor_kernel_scan_outer_dim_with_indicesIdSt10less_equalIdEEEvPKT_PS4_PljjjS4_T0_ ; -- Begin function _ZN2at6native41tensor_kernel_scan_outer_dim_with_indicesIdSt10less_equalIdEEEvPKT_PS4_PljjjS4_T0_
	.globl	_ZN2at6native41tensor_kernel_scan_outer_dim_with_indicesIdSt10less_equalIdEEEvPKT_PS4_PljjjS4_T0_
	.p2align	8
	.type	_ZN2at6native41tensor_kernel_scan_outer_dim_with_indicesIdSt10less_equalIdEEEvPKT_PS4_PljjjS4_T0_,@function
_ZN2at6native41tensor_kernel_scan_outer_dim_with_indicesIdSt10less_equalIdEEEvPKT_PS4_PljjjS4_T0_: ; @_ZN2at6native41tensor_kernel_scan_outer_dim_with_indicesIdSt10less_equalIdEEEvPKT_PS4_PljjjS4_T0_
; %bb.0:
	s_load_dwordx4 s[8:11], s[4:5], 0x18
	s_waitcnt lgkmcnt(0)
	s_cmp_ge_u32 s6, s8
	s_cbranch_scc1 .LBB31_9
; %bb.1:
	s_clause 0x4
	s_load_dword s0, s[4:5], 0x44
	s_load_dword s3, s[4:5], 0x38
	s_load_dwordx2 s[16:17], s[4:5], 0x28
	s_load_dwordx4 s[12:15], s[4:5], 0x0
	s_load_dwordx2 s[18:19], s[4:5], 0x10
	s_add_u32 s4, s4, 56
	s_addc_u32 s5, s5, 0
	v_mov_b32_e32 v2, 0
	s_mov_b32 s21, 0
	s_mov_b32 s20, s9
	s_waitcnt lgkmcnt(0)
	s_and_b32 s11, s0, 0xffff
	s_mul_i32 s0, s6, s10
	v_mad_u64_u32 v[0:1], null, s7, s11, v[0:1]
	s_mul_i32 s1, s0, s9
	s_cmp_lg_u32 s10, 0
	s_mul_i32 s28, s3, s10
	s_cselect_b32 s7, -1, 0
	s_mul_i32 s28, s28, s9
	s_lshl_b64 s[22:23], s[20:21], 3
	v_cmp_gt_u32_e64 s0, s9, v0
	s_mov_b32 s20, s1
	s_branch .LBB31_3
.LBB31_2:                               ;   in Loop: Header=BB31_3 Depth=1
	s_or_b32 exec_lo, exec_lo, s29
	s_add_i32 s6, s3, s6
	s_add_i32 s20, s20, s28
	s_cmp_ge_u32 s6, s8
	s_cbranch_scc1 .LBB31_9
.LBB31_3:                               ; =>This Loop Header: Depth=1
                                        ;     Child Loop BB31_6 Depth 2
                                        ;       Child Loop BB31_8 Depth 3
	s_and_saveexec_b32 s29, s0
	s_cbranch_execz .LBB31_2
; %bb.4:                                ;   in Loop: Header=BB31_3 Depth=1
	s_load_dword s30, s[4:5], 0x4
	v_mov_b32_e32 v1, v0
	s_lshl_b64 s[24:25], s[20:21], 3
	s_mov_b32 s31, 0
	s_waitcnt lgkmcnt(0)
	s_mul_i32 s30, s30, s11
	s_branch .LBB31_6
.LBB31_5:                               ;   in Loop: Header=BB31_6 Depth=2
	s_inst_prefetch 0x2
	v_add_nc_u32_e32 v1, s30, v1
	v_cmp_le_u32_e32 vcc_lo, s9, v1
	s_or_b32 s31, vcc_lo, s31
	s_andn2_b32 exec_lo, exec_lo, s31
	s_cbranch_execz .LBB31_2
.LBB31_6:                               ;   Parent Loop BB31_3 Depth=1
                                        ; =>  This Loop Header: Depth=2
                                        ;       Child Loop BB31_8 Depth 3
	s_andn2_b32 vcc_lo, exec_lo, s7
	s_cbranch_vccnz .LBB31_5
; %bb.7:                                ;   in Loop: Header=BB31_6 Depth=2
	v_lshlrev_b64 v[5:6], 3, v[1:2]
	v_mov_b32_e32 v3, 0
	v_mov_b32_e32 v4, 0
	s_mov_b64 s[26:27], 0
	v_add_co_u32 v7, vcc_lo, s24, v5
	v_add_co_ci_u32_e64 v8, null, s25, v6, vcc_lo
	v_mov_b32_e32 v5, s16
	v_mov_b32_e32 v6, s17
	s_inst_prefetch 0x1
	.p2align	6
.LBB31_8:                               ;   Parent Loop BB31_3 Depth=1
                                        ;     Parent Loop BB31_6 Depth=2
                                        ; =>    This Inner Loop Header: Depth=3
	v_add_co_u32 v9, vcc_lo, s12, v7
	v_add_co_ci_u32_e64 v10, null, s13, v8, vcc_lo
	v_add_co_u32 v11, s2, s18, v7
	v_add_co_ci_u32_e64 v12, null, s19, v8, s2
	global_load_dwordx2 v[9:10], v[9:10], off
	v_add_co_u32 v13, s2, s14, v7
	v_add_co_ci_u32_e64 v14, null, s15, v8, s2
	v_add_co_u32 v7, s2, v7, s22
	v_add_co_ci_u32_e64 v8, null, s23, v8, s2
	s_waitcnt vmcnt(0)
	v_cmp_o_f64_e32 vcc_lo, v[9:10], v[9:10]
	v_cmp_nle_f64_e64 s1, v[9:10], v[5:6]
	s_and_b32 vcc_lo, vcc_lo, s1
	v_cndmask_b32_e32 v6, v10, v6, vcc_lo
	v_cndmask_b32_e32 v5, v9, v5, vcc_lo
	;; [unrolled: 1-line block ×4, first 2 shown]
	s_add_u32 s26, s26, 1
	s_addc_u32 s27, s27, 0
	s_cmp_eq_u32 s10, s26
	global_store_dwordx2 v[13:14], v[5:6], off
	global_store_dwordx2 v[11:12], v[3:4], off
	s_cbranch_scc0 .LBB31_8
	s_branch .LBB31_5
.LBB31_9:
	s_endpgm
	.section	.rodata,"a",@progbits
	.p2align	6, 0x0
	.amdhsa_kernel _ZN2at6native41tensor_kernel_scan_outer_dim_with_indicesIdSt10less_equalIdEEEvPKT_PS4_PljjjS4_T0_
		.amdhsa_group_segment_fixed_size 0
		.amdhsa_private_segment_fixed_size 0
		.amdhsa_kernarg_size 312
		.amdhsa_user_sgpr_count 6
		.amdhsa_user_sgpr_private_segment_buffer 1
		.amdhsa_user_sgpr_dispatch_ptr 0
		.amdhsa_user_sgpr_queue_ptr 0
		.amdhsa_user_sgpr_kernarg_segment_ptr 1
		.amdhsa_user_sgpr_dispatch_id 0
		.amdhsa_user_sgpr_flat_scratch_init 0
		.amdhsa_user_sgpr_private_segment_size 0
		.amdhsa_wavefront_size32 1
		.amdhsa_uses_dynamic_stack 0
		.amdhsa_system_sgpr_private_segment_wavefront_offset 0
		.amdhsa_system_sgpr_workgroup_id_x 1
		.amdhsa_system_sgpr_workgroup_id_y 1
		.amdhsa_system_sgpr_workgroup_id_z 0
		.amdhsa_system_sgpr_workgroup_info 0
		.amdhsa_system_vgpr_workitem_id 0
		.amdhsa_next_free_vgpr 15
		.amdhsa_next_free_sgpr 32
		.amdhsa_reserve_vcc 1
		.amdhsa_reserve_flat_scratch 0
		.amdhsa_float_round_mode_32 0
		.amdhsa_float_round_mode_16_64 0
		.amdhsa_float_denorm_mode_32 3
		.amdhsa_float_denorm_mode_16_64 3
		.amdhsa_dx10_clamp 1
		.amdhsa_ieee_mode 1
		.amdhsa_fp16_overflow 0
		.amdhsa_workgroup_processor_mode 1
		.amdhsa_memory_ordered 1
		.amdhsa_forward_progress 1
		.amdhsa_shared_vgpr_count 0
		.amdhsa_exception_fp_ieee_invalid_op 0
		.amdhsa_exception_fp_denorm_src 0
		.amdhsa_exception_fp_ieee_div_zero 0
		.amdhsa_exception_fp_ieee_overflow 0
		.amdhsa_exception_fp_ieee_underflow 0
		.amdhsa_exception_fp_ieee_inexact 0
		.amdhsa_exception_int_div_zero 0
	.end_amdhsa_kernel
	.section	.text._ZN2at6native41tensor_kernel_scan_outer_dim_with_indicesIdSt10less_equalIdEEEvPKT_PS4_PljjjS4_T0_,"axG",@progbits,_ZN2at6native41tensor_kernel_scan_outer_dim_with_indicesIdSt10less_equalIdEEEvPKT_PS4_PljjjS4_T0_,comdat
.Lfunc_end31:
	.size	_ZN2at6native41tensor_kernel_scan_outer_dim_with_indicesIdSt10less_equalIdEEEvPKT_PS4_PljjjS4_T0_, .Lfunc_end31-_ZN2at6native41tensor_kernel_scan_outer_dim_with_indicesIdSt10less_equalIdEEEvPKT_PS4_PljjjS4_T0_
                                        ; -- End function
	.set _ZN2at6native41tensor_kernel_scan_outer_dim_with_indicesIdSt10less_equalIdEEEvPKT_PS4_PljjjS4_T0_.num_vgpr, 15
	.set _ZN2at6native41tensor_kernel_scan_outer_dim_with_indicesIdSt10less_equalIdEEEvPKT_PS4_PljjjS4_T0_.num_agpr, 0
	.set _ZN2at6native41tensor_kernel_scan_outer_dim_with_indicesIdSt10less_equalIdEEEvPKT_PS4_PljjjS4_T0_.numbered_sgpr, 32
	.set _ZN2at6native41tensor_kernel_scan_outer_dim_with_indicesIdSt10less_equalIdEEEvPKT_PS4_PljjjS4_T0_.num_named_barrier, 0
	.set _ZN2at6native41tensor_kernel_scan_outer_dim_with_indicesIdSt10less_equalIdEEEvPKT_PS4_PljjjS4_T0_.private_seg_size, 0
	.set _ZN2at6native41tensor_kernel_scan_outer_dim_with_indicesIdSt10less_equalIdEEEvPKT_PS4_PljjjS4_T0_.uses_vcc, 1
	.set _ZN2at6native41tensor_kernel_scan_outer_dim_with_indicesIdSt10less_equalIdEEEvPKT_PS4_PljjjS4_T0_.uses_flat_scratch, 0
	.set _ZN2at6native41tensor_kernel_scan_outer_dim_with_indicesIdSt10less_equalIdEEEvPKT_PS4_PljjjS4_T0_.has_dyn_sized_stack, 0
	.set _ZN2at6native41tensor_kernel_scan_outer_dim_with_indicesIdSt10less_equalIdEEEvPKT_PS4_PljjjS4_T0_.has_recursion, 0
	.set _ZN2at6native41tensor_kernel_scan_outer_dim_with_indicesIdSt10less_equalIdEEEvPKT_PS4_PljjjS4_T0_.has_indirect_call, 0
	.section	.AMDGPU.csdata,"",@progbits
; Kernel info:
; codeLenInByte = 468
; TotalNumSgprs: 34
; NumVgprs: 15
; ScratchSize: 0
; MemoryBound: 0
; FloatMode: 240
; IeeeMode: 1
; LDSByteSize: 0 bytes/workgroup (compile time only)
; SGPRBlocks: 0
; VGPRBlocks: 1
; NumSGPRsForWavesPerEU: 34
; NumVGPRsForWavesPerEU: 15
; Occupancy: 16
; WaveLimiterHint : 0
; COMPUTE_PGM_RSRC2:SCRATCH_EN: 0
; COMPUTE_PGM_RSRC2:USER_SGPR: 6
; COMPUTE_PGM_RSRC2:TRAP_HANDLER: 0
; COMPUTE_PGM_RSRC2:TGID_X_EN: 1
; COMPUTE_PGM_RSRC2:TGID_Y_EN: 1
; COMPUTE_PGM_RSRC2:TGID_Z_EN: 0
; COMPUTE_PGM_RSRC2:TIDIG_COMP_CNT: 0
	.section	.text._ZN2at6native45tensor_kernel_scan_innermost_dim_with_indicesIfSt10less_equalIfEEEvPKT_PS4_PliijjS4_T0_,"axG",@progbits,_ZN2at6native45tensor_kernel_scan_innermost_dim_with_indicesIfSt10less_equalIfEEEvPKT_PS4_PliijjS4_T0_,comdat
	.protected	_ZN2at6native45tensor_kernel_scan_innermost_dim_with_indicesIfSt10less_equalIfEEEvPKT_PS4_PliijjS4_T0_ ; -- Begin function _ZN2at6native45tensor_kernel_scan_innermost_dim_with_indicesIfSt10less_equalIfEEEvPKT_PS4_PliijjS4_T0_
	.globl	_ZN2at6native45tensor_kernel_scan_innermost_dim_with_indicesIfSt10less_equalIfEEEvPKT_PS4_PliijjS4_T0_
	.p2align	8
	.type	_ZN2at6native45tensor_kernel_scan_innermost_dim_with_indicesIfSt10less_equalIfEEEvPKT_PS4_PliijjS4_T0_,@function
_ZN2at6native45tensor_kernel_scan_innermost_dim_with_indicesIfSt10less_equalIfEEEvPKT_PS4_PliijjS4_T0_: ; @_ZN2at6native45tensor_kernel_scan_innermost_dim_with_indicesIfSt10less_equalIfEEEvPKT_PS4_PliijjS4_T0_
; %bb.0:
	s_clause 0x1
	s_load_dword s2, s[4:5], 0x3c
	s_load_dwordx4 s[8:11], s[4:5], 0x18
	s_add_u32 s0, s4, 48
	s_addc_u32 s1, s5, 0
	s_waitcnt lgkmcnt(0)
	s_lshr_b32 s2, s2, 16
	s_mul_i32 s6, s6, s2
	s_cmp_ge_i32 s6, s8
	s_cbranch_scc1 .LBB32_31
; %bb.1:
	s_lshl_b32 s7, 2, s11
	s_clause 0x2
	s_load_dword s16, s[4:5], 0x28
	s_load_dwordx4 s[12:15], s[4:5], 0x0
	s_load_dwordx2 s[4:5], s[4:5], 0x10
	s_load_dword s17, s[0:1], 0x0
	v_mul_lo_u32 v2, s7, v1
	s_lshl_b32 s0, s10, 3
	s_lshl_b32 s10, 1, s11
	s_cmp_gt_i32 s9, 0
	s_cselect_b32 s11, -1, 0
	s_add_i32 s1, s7, -1
	v_lshlrev_b32_e32 v3, 3, v2
	v_lshl_add_u32 v8, v2, 2, 0
	v_add3_u32 v9, 0, s0, v3
	v_lshl_add_u32 v10, v0, 2, v8
	v_cmp_eq_u32_e64 s0, 0, v0
	v_lshl_add_u32 v12, s1, 2, v8
	v_lshl_add_u32 v11, v0, 3, v9
	;; [unrolled: 1-line block ×4, first 2 shown]
	s_waitcnt lgkmcnt(0)
	s_mul_i32 s17, s17, s2
	v_lshl_add_u32 v15, s10, 3, v11
	s_branch .LBB32_3
.LBB32_2:                               ;   in Loop: Header=BB32_3 Depth=1
	s_add_i32 s6, s17, s6
	s_cmp_ge_i32 s6, s8
	s_cbranch_scc1 .LBB32_31
.LBB32_3:                               ; =>This Loop Header: Depth=1
                                        ;     Child Loop BB32_6 Depth 2
                                        ;       Child Loop BB32_21 Depth 3
	s_andn2_b32 vcc_lo, exec_lo, s11
	s_cbranch_vccnz .LBB32_2
; %bb.4:                                ;   in Loop: Header=BB32_3 Depth=1
	v_add_nc_u32_e32 v16, s6, v1
	v_mov_b32_e32 v6, 0
	v_mov_b32_e32 v7, 0
	;; [unrolled: 1-line block ×3, first 2 shown]
	s_mov_b32 s18, 0
	v_mul_lo_u32 v2, v16, s9
	v_cmp_gt_i32_e32 vcc_lo, s8, v16
	v_cmp_le_i32_e64 s1, s8, v16
	v_ashrrev_i32_e32 v3, 31, v2
	v_lshlrev_b64 v[4:5], 2, v[2:3]
	v_lshlrev_b64 v[2:3], 3, v[2:3]
	v_add_co_u32 v16, s2, s12, v4
	v_add_co_ci_u32_e64 v17, null, s13, v5, s2
	v_add_co_u32 v18, s2, s14, v4
	v_add_co_ci_u32_e64 v19, null, s15, v5, s2
	;; [unrolled: 2-line block ×3, first 2 shown]
	s_branch .LBB32_6
.LBB32_5:                               ;   in Loop: Header=BB32_6 Depth=2
	s_or_b32 exec_lo, exec_lo, s3
	ds_read_b32 v22, v12
	ds_read_b64 v[6:7], v14
	s_add_i32 s18, s18, s7
	s_waitcnt lgkmcnt(0)
	s_waitcnt_vscnt null, 0x0
	s_cmp_ge_i32 s18, s9
	s_barrier
	buffer_gl0_inv
	s_cbranch_scc1 .LBB32_2
.LBB32_6:                               ;   Parent Loop BB32_3 Depth=1
                                        ; =>  This Loop Header: Depth=2
                                        ;       Child Loop BB32_21 Depth 3
	v_add_nc_u32_e32 v4, s18, v0
	v_add_nc_u32_e32 v2, s10, v4
	s_and_saveexec_b32 s19, vcc_lo
	s_cbranch_execz .LBB32_18
; %bb.7:                                ;   in Loop: Header=BB32_6 Depth=2
	v_cmp_le_i32_e64 s2, s9, v4
	s_and_saveexec_b32 s3, s2
	s_xor_b32 s2, exec_lo, s3
; %bb.8:                                ;   in Loop: Header=BB32_6 Depth=2
	v_mov_b32_e32 v3, s16
	ds_write_b32 v10, v3
; %bb.9:                                ;   in Loop: Header=BB32_6 Depth=2
	s_andn2_saveexec_b32 s3, s2
	s_cbranch_execz .LBB32_11
; %bb.10:                               ;   in Loop: Header=BB32_6 Depth=2
	v_ashrrev_i32_e32 v5, 31, v4
	v_lshlrev_b64 v[23:24], 2, v[4:5]
	v_add_co_u32 v23, s2, v16, v23
	v_add_co_ci_u32_e64 v24, null, v17, v24, s2
	global_load_dword v3, v[23:24], off
	s_waitcnt vmcnt(0)
	ds_write_b32 v10, v3
	ds_write_b64 v11, v[4:5]
.LBB32_11:                              ;   in Loop: Header=BB32_6 Depth=2
	s_or_b32 exec_lo, exec_lo, s3
	v_cmp_le_i32_e64 s2, s9, v2
	s_and_saveexec_b32 s3, s2
	s_xor_b32 s2, exec_lo, s3
	s_cbranch_execnz .LBB32_14
; %bb.12:                               ;   in Loop: Header=BB32_6 Depth=2
	s_andn2_saveexec_b32 s3, s2
	s_cbranch_execnz .LBB32_15
.LBB32_13:                              ;   in Loop: Header=BB32_6 Depth=2
	s_or_b32 exec_lo, exec_lo, s3
	s_and_b32 exec_lo, exec_lo, s0
	s_cbranch_execnz .LBB32_16
	s_branch .LBB32_18
.LBB32_14:                              ;   in Loop: Header=BB32_6 Depth=2
	v_mov_b32_e32 v3, s16
	ds_write_b32 v13, v3
	s_andn2_saveexec_b32 s3, s2
	s_cbranch_execz .LBB32_13
.LBB32_15:                              ;   in Loop: Header=BB32_6 Depth=2
	v_ashrrev_i32_e32 v3, 31, v2
	v_lshlrev_b64 v[23:24], 2, v[2:3]
	v_add_co_u32 v23, s2, v16, v23
	v_add_co_ci_u32_e64 v24, null, v17, v24, s2
	global_load_dword v5, v[23:24], off
	s_waitcnt vmcnt(0)
	ds_write_b32 v13, v5
	ds_write_b64 v15, v[2:3]
	s_or_b32 exec_lo, exec_lo, s3
	s_and_b32 exec_lo, exec_lo, s0
	s_cbranch_execz .LBB32_18
.LBB32_16:                              ;   in Loop: Header=BB32_6 Depth=2
	ds_read_b32 v3, v8
	s_waitcnt lgkmcnt(0)
	v_cmp_o_f32_e64 s2, v3, v3
	v_cmp_nle_f32_e64 s3, v3, v22
	s_and_b32 s2, s2, s3
	s_and_b32 exec_lo, exec_lo, s2
	s_cbranch_execz .LBB32_18
; %bb.17:                               ;   in Loop: Header=BB32_6 Depth=2
	ds_write_b32 v8, v22
	ds_write_b64 v9, v[6:7]
.LBB32_18:                              ;   in Loop: Header=BB32_6 Depth=2
	s_or_b32 exec_lo, exec_lo, s19
	v_mov_b32_e32 v3, 1
	s_mov_b32 s19, 0
	s_waitcnt lgkmcnt(0)
	s_barrier
	buffer_gl0_inv
	s_branch .LBB32_21
.LBB32_19:                              ;   in Loop: Header=BB32_21 Depth=3
	s_or_b32 exec_lo, exec_lo, s2
	v_mov_b32_e32 v3, v5
.LBB32_20:                              ;   in Loop: Header=BB32_21 Depth=3
	s_or_b32 exec_lo, exec_lo, s20
	v_cmp_lt_u32_e64 s2, s10, v3
	s_waitcnt lgkmcnt(0)
	s_barrier
	buffer_gl0_inv
	s_or_b32 s19, s2, s19
	s_andn2_b32 exec_lo, exec_lo, s19
	s_cbranch_execz .LBB32_26
.LBB32_21:                              ;   Parent Loop BB32_3 Depth=1
                                        ;     Parent Loop BB32_6 Depth=2
                                        ; =>    This Inner Loop Header: Depth=3
	v_lshlrev_b32_e32 v5, 1, v3
	s_and_saveexec_b32 s2, s1
	s_xor_b32 s2, exec_lo, s2
; %bb.22:                               ;   in Loop: Header=BB32_21 Depth=3
	v_lshlrev_b32_e32 v3, 1, v3
                                        ; implicit-def: $vgpr5
; %bb.23:                               ;   in Loop: Header=BB32_21 Depth=3
	s_andn2_saveexec_b32 s20, s2
	s_cbranch_execz .LBB32_20
; %bb.24:                               ;   in Loop: Header=BB32_21 Depth=3
	v_ffbl_b32_e32 v6, v3
	v_add_nc_u32_e32 v22, -1, v3
	v_lshrrev_b32_e32 v6, v6, v0
	v_mad_u64_u32 v[6:7], null, v5, v6, v[3:4]
	v_and_b32_e32 v3, v22, v0
	v_add_nc_u32_e32 v3, v6, v3
	v_add_nc_u32_e32 v6, -1, v6
	v_lshl_add_u32 v7, v3, 2, v8
	v_lshl_add_u32 v22, v6, 2, v8
	ds_read_b32 v23, v7
	ds_read_b32 v22, v22
	s_waitcnt lgkmcnt(1)
	v_cmp_o_f32_e64 s2, v23, v23
	s_waitcnt lgkmcnt(0)
	v_cmp_nle_f32_e64 s3, v23, v22
	s_and_b32 s3, s2, s3
	s_and_saveexec_b32 s2, s3
	s_cbranch_execz .LBB32_19
; %bb.25:                               ;   in Loop: Header=BB32_21 Depth=3
	v_lshl_add_u32 v6, v6, 3, v9
	v_lshl_add_u32 v3, v3, 3, v9
	ds_read_b64 v[23:24], v6
	ds_write_b32 v7, v22
	s_waitcnt lgkmcnt(1)
	ds_write_b64 v3, v[23:24]
	s_branch .LBB32_19
.LBB32_26:                              ;   in Loop: Header=BB32_6 Depth=2
	s_or_b32 exec_lo, exec_lo, s19
	s_and_saveexec_b32 s3, vcc_lo
	s_cbranch_execz .LBB32_5
; %bb.27:                               ;   in Loop: Header=BB32_6 Depth=2
	s_mov_b32 s19, exec_lo
	v_cmpx_gt_i32_e64 s9, v4
	s_cbranch_execz .LBB32_29
; %bb.28:                               ;   in Loop: Header=BB32_6 Depth=2
	ds_read_b32 v24, v10
	ds_read_b64 v[6:7], v11
	v_ashrrev_i32_e32 v5, 31, v4
	v_lshlrev_b64 v[22:23], 2, v[4:5]
	v_lshlrev_b64 v[3:4], 3, v[4:5]
	v_add_co_u32 v22, s2, v18, v22
	v_add_co_ci_u32_e64 v23, null, v19, v23, s2
	v_add_co_u32 v3, s2, v20, v3
	v_add_co_ci_u32_e64 v4, null, v21, v4, s2
	s_waitcnt lgkmcnt(1)
	global_store_dword v[22:23], v24, off
	s_waitcnt lgkmcnt(0)
	global_store_dwordx2 v[3:4], v[6:7], off
.LBB32_29:                              ;   in Loop: Header=BB32_6 Depth=2
	s_or_b32 exec_lo, exec_lo, s19
	v_cmp_gt_i32_e64 s2, s9, v2
	s_and_b32 exec_lo, exec_lo, s2
	s_cbranch_execz .LBB32_5
; %bb.30:                               ;   in Loop: Header=BB32_6 Depth=2
	ds_read_b32 v22, v13
	ds_read_b64 v[4:5], v15
	v_ashrrev_i32_e32 v3, 31, v2
	v_lshlrev_b64 v[6:7], 2, v[2:3]
	v_lshlrev_b64 v[2:3], 3, v[2:3]
	v_add_co_u32 v6, s2, v18, v6
	v_add_co_ci_u32_e64 v7, null, v19, v7, s2
	v_add_co_u32 v2, s2, v20, v2
	v_add_co_ci_u32_e64 v3, null, v21, v3, s2
	s_waitcnt lgkmcnt(1)
	global_store_dword v[6:7], v22, off
	s_waitcnt lgkmcnt(0)
	global_store_dwordx2 v[2:3], v[4:5], off
	s_branch .LBB32_5
.LBB32_31:
	s_endpgm
	.section	.rodata,"a",@progbits
	.p2align	6, 0x0
	.amdhsa_kernel _ZN2at6native45tensor_kernel_scan_innermost_dim_with_indicesIfSt10less_equalIfEEEvPKT_PS4_PliijjS4_T0_
		.amdhsa_group_segment_fixed_size 0
		.amdhsa_private_segment_fixed_size 0
		.amdhsa_kernarg_size 304
		.amdhsa_user_sgpr_count 6
		.amdhsa_user_sgpr_private_segment_buffer 1
		.amdhsa_user_sgpr_dispatch_ptr 0
		.amdhsa_user_sgpr_queue_ptr 0
		.amdhsa_user_sgpr_kernarg_segment_ptr 1
		.amdhsa_user_sgpr_dispatch_id 0
		.amdhsa_user_sgpr_flat_scratch_init 0
		.amdhsa_user_sgpr_private_segment_size 0
		.amdhsa_wavefront_size32 1
		.amdhsa_uses_dynamic_stack 0
		.amdhsa_system_sgpr_private_segment_wavefront_offset 0
		.amdhsa_system_sgpr_workgroup_id_x 1
		.amdhsa_system_sgpr_workgroup_id_y 0
		.amdhsa_system_sgpr_workgroup_id_z 0
		.amdhsa_system_sgpr_workgroup_info 0
		.amdhsa_system_vgpr_workitem_id 1
		.amdhsa_next_free_vgpr 25
		.amdhsa_next_free_sgpr 21
		.amdhsa_reserve_vcc 1
		.amdhsa_reserve_flat_scratch 0
		.amdhsa_float_round_mode_32 0
		.amdhsa_float_round_mode_16_64 0
		.amdhsa_float_denorm_mode_32 3
		.amdhsa_float_denorm_mode_16_64 3
		.amdhsa_dx10_clamp 1
		.amdhsa_ieee_mode 1
		.amdhsa_fp16_overflow 0
		.amdhsa_workgroup_processor_mode 1
		.amdhsa_memory_ordered 1
		.amdhsa_forward_progress 1
		.amdhsa_shared_vgpr_count 0
		.amdhsa_exception_fp_ieee_invalid_op 0
		.amdhsa_exception_fp_denorm_src 0
		.amdhsa_exception_fp_ieee_div_zero 0
		.amdhsa_exception_fp_ieee_overflow 0
		.amdhsa_exception_fp_ieee_underflow 0
		.amdhsa_exception_fp_ieee_inexact 0
		.amdhsa_exception_int_div_zero 0
	.end_amdhsa_kernel
	.section	.text._ZN2at6native45tensor_kernel_scan_innermost_dim_with_indicesIfSt10less_equalIfEEEvPKT_PS4_PliijjS4_T0_,"axG",@progbits,_ZN2at6native45tensor_kernel_scan_innermost_dim_with_indicesIfSt10less_equalIfEEEvPKT_PS4_PliijjS4_T0_,comdat
.Lfunc_end32:
	.size	_ZN2at6native45tensor_kernel_scan_innermost_dim_with_indicesIfSt10less_equalIfEEEvPKT_PS4_PliijjS4_T0_, .Lfunc_end32-_ZN2at6native45tensor_kernel_scan_innermost_dim_with_indicesIfSt10less_equalIfEEEvPKT_PS4_PliijjS4_T0_
                                        ; -- End function
	.set _ZN2at6native45tensor_kernel_scan_innermost_dim_with_indicesIfSt10less_equalIfEEEvPKT_PS4_PliijjS4_T0_.num_vgpr, 25
	.set _ZN2at6native45tensor_kernel_scan_innermost_dim_with_indicesIfSt10less_equalIfEEEvPKT_PS4_PliijjS4_T0_.num_agpr, 0
	.set _ZN2at6native45tensor_kernel_scan_innermost_dim_with_indicesIfSt10less_equalIfEEEvPKT_PS4_PliijjS4_T0_.numbered_sgpr, 21
	.set _ZN2at6native45tensor_kernel_scan_innermost_dim_with_indicesIfSt10less_equalIfEEEvPKT_PS4_PliijjS4_T0_.num_named_barrier, 0
	.set _ZN2at6native45tensor_kernel_scan_innermost_dim_with_indicesIfSt10less_equalIfEEEvPKT_PS4_PliijjS4_T0_.private_seg_size, 0
	.set _ZN2at6native45tensor_kernel_scan_innermost_dim_with_indicesIfSt10less_equalIfEEEvPKT_PS4_PliijjS4_T0_.uses_vcc, 1
	.set _ZN2at6native45tensor_kernel_scan_innermost_dim_with_indicesIfSt10less_equalIfEEEvPKT_PS4_PliijjS4_T0_.uses_flat_scratch, 0
	.set _ZN2at6native45tensor_kernel_scan_innermost_dim_with_indicesIfSt10less_equalIfEEEvPKT_PS4_PliijjS4_T0_.has_dyn_sized_stack, 0
	.set _ZN2at6native45tensor_kernel_scan_innermost_dim_with_indicesIfSt10less_equalIfEEEvPKT_PS4_PliijjS4_T0_.has_recursion, 0
	.set _ZN2at6native45tensor_kernel_scan_innermost_dim_with_indicesIfSt10less_equalIfEEEvPKT_PS4_PliijjS4_T0_.has_indirect_call, 0
	.section	.AMDGPU.csdata,"",@progbits
; Kernel info:
; codeLenInByte = 1180
; TotalNumSgprs: 23
; NumVgprs: 25
; ScratchSize: 0
; MemoryBound: 0
; FloatMode: 240
; IeeeMode: 1
; LDSByteSize: 0 bytes/workgroup (compile time only)
; SGPRBlocks: 0
; VGPRBlocks: 3
; NumSGPRsForWavesPerEU: 23
; NumVGPRsForWavesPerEU: 25
; Occupancy: 16
; WaveLimiterHint : 0
; COMPUTE_PGM_RSRC2:SCRATCH_EN: 0
; COMPUTE_PGM_RSRC2:USER_SGPR: 6
; COMPUTE_PGM_RSRC2:TRAP_HANDLER: 0
; COMPUTE_PGM_RSRC2:TGID_X_EN: 1
; COMPUTE_PGM_RSRC2:TGID_Y_EN: 0
; COMPUTE_PGM_RSRC2:TGID_Z_EN: 0
; COMPUTE_PGM_RSRC2:TIDIG_COMP_CNT: 1
	.section	.text._ZN2at6native41tensor_kernel_scan_outer_dim_with_indicesIfSt10less_equalIfEEEvPKT_PS4_PljjjS4_T0_,"axG",@progbits,_ZN2at6native41tensor_kernel_scan_outer_dim_with_indicesIfSt10less_equalIfEEEvPKT_PS4_PljjjS4_T0_,comdat
	.protected	_ZN2at6native41tensor_kernel_scan_outer_dim_with_indicesIfSt10less_equalIfEEEvPKT_PS4_PljjjS4_T0_ ; -- Begin function _ZN2at6native41tensor_kernel_scan_outer_dim_with_indicesIfSt10less_equalIfEEEvPKT_PS4_PljjjS4_T0_
	.globl	_ZN2at6native41tensor_kernel_scan_outer_dim_with_indicesIfSt10less_equalIfEEEvPKT_PS4_PljjjS4_T0_
	.p2align	8
	.type	_ZN2at6native41tensor_kernel_scan_outer_dim_with_indicesIfSt10less_equalIfEEEvPKT_PS4_PljjjS4_T0_,@function
_ZN2at6native41tensor_kernel_scan_outer_dim_with_indicesIfSt10less_equalIfEEEvPKT_PS4_PljjjS4_T0_: ; @_ZN2at6native41tensor_kernel_scan_outer_dim_with_indicesIfSt10less_equalIfEEEvPKT_PS4_PljjjS4_T0_
; %bb.0:
	s_load_dwordx4 s[8:11], s[4:5], 0x18
	s_waitcnt lgkmcnt(0)
	s_cmp_ge_u32 s6, s8
	s_cbranch_scc1 .LBB33_9
; %bb.1:
	s_clause 0x3
	s_load_dword s0, s[4:5], 0x3c
	s_load_dword s26, s[4:5], 0x30
	s_load_dwordx4 s[12:15], s[4:5], 0x0
	s_load_dwordx2 s[2:3], s[4:5], 0x10
	s_add_u32 s4, s4, 48
	s_addc_u32 s5, s5, 0
	s_mul_i32 s1, s6, s10
	v_mov_b32_e32 v2, 0
	s_mov_b32 s17, 0
	s_mov_b32 s16, s9
	s_mul_i32 s1, s1, s9
	s_waitcnt lgkmcnt(0)
	s_and_b32 s27, s0, 0xffff
	s_cmp_lg_u32 s10, 0
	v_mad_u64_u32 v[0:1], null, s7, s27, v[0:1]
	s_mul_i32 s7, s26, s10
	s_cselect_b32 s28, -1, 0
	s_mul_i32 s7, s7, s9
	s_lshl_b64 s[18:19], s[16:17], 3
	s_lshl_b64 s[20:21], s[16:17], 2
	s_mov_b32 s16, s1
	v_cmp_gt_u32_e64 s0, s9, v0
	s_branch .LBB33_3
.LBB33_2:                               ;   in Loop: Header=BB33_3 Depth=1
	s_or_b32 exec_lo, exec_lo, s29
	s_add_i32 s6, s26, s6
	s_add_i32 s16, s16, s7
	s_cmp_ge_u32 s6, s8
	s_cbranch_scc1 .LBB33_9
.LBB33_3:                               ; =>This Loop Header: Depth=1
                                        ;     Child Loop BB33_6 Depth 2
                                        ;       Child Loop BB33_8 Depth 3
	s_and_saveexec_b32 s29, s0
	s_cbranch_execz .LBB33_2
; %bb.4:                                ;   in Loop: Header=BB33_3 Depth=1
	s_load_dword s33, s[4:5], 0x4
	s_lshl_b64 s[24:25], s[16:17], 3
	v_mov_b32_e32 v1, v0
	s_lshl_b64 s[22:23], s[16:17], 2
	s_add_u32 s30, s2, s24
	s_addc_u32 s31, s3, s25
	s_mov_b32 s34, 0
	s_waitcnt lgkmcnt(0)
	s_mul_i32 s33, s33, s27
	s_branch .LBB33_6
.LBB33_5:                               ;   in Loop: Header=BB33_6 Depth=2
	s_inst_prefetch 0x2
	v_add_nc_u32_e32 v1, s33, v1
	v_cmp_le_u32_e32 vcc_lo, s9, v1
	s_or_b32 s34, vcc_lo, s34
	s_andn2_b32 exec_lo, exec_lo, s34
	s_cbranch_execz .LBB33_2
.LBB33_6:                               ;   Parent Loop BB33_3 Depth=1
                                        ; =>  This Loop Header: Depth=2
                                        ;       Child Loop BB33_8 Depth 3
	s_andn2_b32 vcc_lo, exec_lo, s28
	s_cbranch_vccnz .LBB33_5
; %bb.7:                                ;   in Loop: Header=BB33_6 Depth=2
	v_lshlrev_b64 v[3:4], 3, v[1:2]
	v_lshlrev_b64 v[5:6], 2, v[1:2]
	v_mov_b32_e32 v9, s11
	s_mov_b64 s[24:25], 0
	v_add_co_u32 v3, vcc_lo, s30, v3
	v_add_co_ci_u32_e64 v4, null, s31, v4, vcc_lo
	v_add_co_u32 v7, vcc_lo, s22, v5
	v_add_co_ci_u32_e64 v8, null, s23, v6, vcc_lo
	v_mov_b32_e32 v5, 0
	v_mov_b32_e32 v6, 0
	s_inst_prefetch 0x1
	.p2align	6
.LBB33_8:                               ;   Parent Loop BB33_3 Depth=1
                                        ;     Parent Loop BB33_6 Depth=2
                                        ; =>    This Inner Loop Header: Depth=3
	v_add_co_u32 v10, vcc_lo, s12, v7
	v_add_co_ci_u32_e64 v11, null, s13, v8, vcc_lo
	global_load_dword v12, v[10:11], off
	v_add_co_u32 v10, vcc_lo, s14, v7
	v_add_co_ci_u32_e64 v11, null, s15, v8, vcc_lo
	v_add_co_u32 v7, vcc_lo, v7, s20
	v_add_co_ci_u32_e64 v8, null, s21, v8, vcc_lo
	s_waitcnt vmcnt(0)
	v_cmp_o_f32_e32 vcc_lo, v12, v12
	v_cmp_nle_f32_e64 s1, v12, v9
	s_and_b32 vcc_lo, vcc_lo, s1
	v_cndmask_b32_e32 v6, s25, v6, vcc_lo
	v_cndmask_b32_e32 v5, s24, v5, vcc_lo
	;; [unrolled: 1-line block ×3, first 2 shown]
	s_add_u32 s24, s24, 1
	s_addc_u32 s25, s25, 0
	s_cmp_eq_u32 s10, s24
	global_store_dwordx2 v[3:4], v[5:6], off
	v_add_co_u32 v3, vcc_lo, v3, s18
	v_add_co_ci_u32_e64 v4, null, s19, v4, vcc_lo
	global_store_dword v[10:11], v9, off
	s_cbranch_scc0 .LBB33_8
	s_branch .LBB33_5
.LBB33_9:
	s_endpgm
	.section	.rodata,"a",@progbits
	.p2align	6, 0x0
	.amdhsa_kernel _ZN2at6native41tensor_kernel_scan_outer_dim_with_indicesIfSt10less_equalIfEEEvPKT_PS4_PljjjS4_T0_
		.amdhsa_group_segment_fixed_size 0
		.amdhsa_private_segment_fixed_size 0
		.amdhsa_kernarg_size 304
		.amdhsa_user_sgpr_count 6
		.amdhsa_user_sgpr_private_segment_buffer 1
		.amdhsa_user_sgpr_dispatch_ptr 0
		.amdhsa_user_sgpr_queue_ptr 0
		.amdhsa_user_sgpr_kernarg_segment_ptr 1
		.amdhsa_user_sgpr_dispatch_id 0
		.amdhsa_user_sgpr_flat_scratch_init 0
		.amdhsa_user_sgpr_private_segment_size 0
		.amdhsa_wavefront_size32 1
		.amdhsa_uses_dynamic_stack 0
		.amdhsa_system_sgpr_private_segment_wavefront_offset 0
		.amdhsa_system_sgpr_workgroup_id_x 1
		.amdhsa_system_sgpr_workgroup_id_y 1
		.amdhsa_system_sgpr_workgroup_id_z 0
		.amdhsa_system_sgpr_workgroup_info 0
		.amdhsa_system_vgpr_workitem_id 0
		.amdhsa_next_free_vgpr 13
		.amdhsa_next_free_sgpr 35
		.amdhsa_reserve_vcc 1
		.amdhsa_reserve_flat_scratch 0
		.amdhsa_float_round_mode_32 0
		.amdhsa_float_round_mode_16_64 0
		.amdhsa_float_denorm_mode_32 3
		.amdhsa_float_denorm_mode_16_64 3
		.amdhsa_dx10_clamp 1
		.amdhsa_ieee_mode 1
		.amdhsa_fp16_overflow 0
		.amdhsa_workgroup_processor_mode 1
		.amdhsa_memory_ordered 1
		.amdhsa_forward_progress 1
		.amdhsa_shared_vgpr_count 0
		.amdhsa_exception_fp_ieee_invalid_op 0
		.amdhsa_exception_fp_denorm_src 0
		.amdhsa_exception_fp_ieee_div_zero 0
		.amdhsa_exception_fp_ieee_overflow 0
		.amdhsa_exception_fp_ieee_underflow 0
		.amdhsa_exception_fp_ieee_inexact 0
		.amdhsa_exception_int_div_zero 0
	.end_amdhsa_kernel
	.section	.text._ZN2at6native41tensor_kernel_scan_outer_dim_with_indicesIfSt10less_equalIfEEEvPKT_PS4_PljjjS4_T0_,"axG",@progbits,_ZN2at6native41tensor_kernel_scan_outer_dim_with_indicesIfSt10less_equalIfEEEvPKT_PS4_PljjjS4_T0_,comdat
.Lfunc_end33:
	.size	_ZN2at6native41tensor_kernel_scan_outer_dim_with_indicesIfSt10less_equalIfEEEvPKT_PS4_PljjjS4_T0_, .Lfunc_end33-_ZN2at6native41tensor_kernel_scan_outer_dim_with_indicesIfSt10less_equalIfEEEvPKT_PS4_PljjjS4_T0_
                                        ; -- End function
	.set _ZN2at6native41tensor_kernel_scan_outer_dim_with_indicesIfSt10less_equalIfEEEvPKT_PS4_PljjjS4_T0_.num_vgpr, 13
	.set _ZN2at6native41tensor_kernel_scan_outer_dim_with_indicesIfSt10less_equalIfEEEvPKT_PS4_PljjjS4_T0_.num_agpr, 0
	.set _ZN2at6native41tensor_kernel_scan_outer_dim_with_indicesIfSt10less_equalIfEEEvPKT_PS4_PljjjS4_T0_.numbered_sgpr, 35
	.set _ZN2at6native41tensor_kernel_scan_outer_dim_with_indicesIfSt10less_equalIfEEEvPKT_PS4_PljjjS4_T0_.num_named_barrier, 0
	.set _ZN2at6native41tensor_kernel_scan_outer_dim_with_indicesIfSt10less_equalIfEEEvPKT_PS4_PljjjS4_T0_.private_seg_size, 0
	.set _ZN2at6native41tensor_kernel_scan_outer_dim_with_indicesIfSt10less_equalIfEEEvPKT_PS4_PljjjS4_T0_.uses_vcc, 1
	.set _ZN2at6native41tensor_kernel_scan_outer_dim_with_indicesIfSt10less_equalIfEEEvPKT_PS4_PljjjS4_T0_.uses_flat_scratch, 0
	.set _ZN2at6native41tensor_kernel_scan_outer_dim_with_indicesIfSt10less_equalIfEEEvPKT_PS4_PljjjS4_T0_.has_dyn_sized_stack, 0
	.set _ZN2at6native41tensor_kernel_scan_outer_dim_with_indicesIfSt10less_equalIfEEEvPKT_PS4_PljjjS4_T0_.has_recursion, 0
	.set _ZN2at6native41tensor_kernel_scan_outer_dim_with_indicesIfSt10less_equalIfEEEvPKT_PS4_PljjjS4_T0_.has_indirect_call, 0
	.section	.AMDGPU.csdata,"",@progbits
; Kernel info:
; codeLenInByte = 464
; TotalNumSgprs: 37
; NumVgprs: 13
; ScratchSize: 0
; MemoryBound: 0
; FloatMode: 240
; IeeeMode: 1
; LDSByteSize: 0 bytes/workgroup (compile time only)
; SGPRBlocks: 0
; VGPRBlocks: 1
; NumSGPRsForWavesPerEU: 37
; NumVGPRsForWavesPerEU: 13
; Occupancy: 16
; WaveLimiterHint : 0
; COMPUTE_PGM_RSRC2:SCRATCH_EN: 0
; COMPUTE_PGM_RSRC2:USER_SGPR: 6
; COMPUTE_PGM_RSRC2:TRAP_HANDLER: 0
; COMPUTE_PGM_RSRC2:TGID_X_EN: 1
; COMPUTE_PGM_RSRC2:TGID_Y_EN: 1
; COMPUTE_PGM_RSRC2:TGID_Z_EN: 0
; COMPUTE_PGM_RSRC2:TIDIG_COMP_CNT: 0
	.section	.text._ZN2at6native45tensor_kernel_scan_innermost_dim_with_indicesIbSt10less_equalIbEEEvPKT_PS4_PliijjS4_T0_,"axG",@progbits,_ZN2at6native45tensor_kernel_scan_innermost_dim_with_indicesIbSt10less_equalIbEEEvPKT_PS4_PliijjS4_T0_,comdat
	.protected	_ZN2at6native45tensor_kernel_scan_innermost_dim_with_indicesIbSt10less_equalIbEEEvPKT_PS4_PliijjS4_T0_ ; -- Begin function _ZN2at6native45tensor_kernel_scan_innermost_dim_with_indicesIbSt10less_equalIbEEEvPKT_PS4_PliijjS4_T0_
	.globl	_ZN2at6native45tensor_kernel_scan_innermost_dim_with_indicesIbSt10less_equalIbEEEvPKT_PS4_PliijjS4_T0_
	.p2align	8
	.type	_ZN2at6native45tensor_kernel_scan_innermost_dim_with_indicesIbSt10less_equalIbEEEvPKT_PS4_PliijjS4_T0_,@function
_ZN2at6native45tensor_kernel_scan_innermost_dim_with_indicesIbSt10less_equalIbEEEvPKT_PS4_PliijjS4_T0_: ; @_ZN2at6native45tensor_kernel_scan_innermost_dim_with_indicesIbSt10less_equalIbEEEvPKT_PS4_PliijjS4_T0_
; %bb.0:
	s_clause 0x1
	s_load_dword s0, s[4:5], 0x3c
	s_load_dwordx4 s[8:11], s[4:5], 0x18
	s_add_u32 s2, s4, 48
	s_addc_u32 s3, s5, 0
	s_waitcnt lgkmcnt(0)
	s_lshr_b32 s1, s0, 16
	s_mul_i32 s6, s6, s1
	s_cmp_ge_i32 s6, s8
	s_cbranch_scc1 .LBB34_31
; %bb.1:
	s_clause 0x2
	s_load_dword s17, s[4:5], 0x28
	s_load_dwordx4 s[12:15], s[4:5], 0x0
	s_load_dwordx2 s[4:5], s[4:5], 0x10
	s_load_dword s2, s[2:3], 0x0
	v_cmp_eq_u32_e64 s0, 0, v0
	v_mov_b32_e32 v8, 0
	s_waitcnt lgkmcnt(0)
	s_bitcmp1_b32 s17, 0
	s_cselect_b32 s7, -1, 0
	s_lshl_b32 s16, 2, s11
	s_and_b32 s3, s17, 1
	v_mul_lo_u32 v2, s16, v1
	s_lshl_b32 s17, s10, 1
	s_lshl_b32 s10, 1, s11
	s_cmp_gt_i32 s9, 0
	v_add_nc_u32_e32 v9, s10, v0
	s_cselect_b32 s11, -1, 0
	v_lshlrev_b32_e32 v3, 3, v2
	v_add_nc_u32_e32 v10, 0, v2
	v_add3_u32 v11, 0, s17, v3
	v_add_nc_u32_e32 v2, s10, v10
	s_add_i32 s17, s16, -1
	v_add_nc_u32_e32 v13, v10, v0
	v_add_nc_u32_e32 v14, v10, v9
	v_lshl_add_u32 v12, v0, 3, v11
	v_lshl_add_u32 v15, s17, 3, v11
	v_add_nc_u32_e32 v16, v2, v0
	v_add_nc_u32_e32 v18, s17, v10
	s_mul_i32 s17, s2, s1
	v_lshl_add_u32 v17, s10, 3, v12
	s_branch .LBB34_3
.LBB34_2:                               ;   in Loop: Header=BB34_3 Depth=1
	s_add_i32 s6, s17, s6
	s_cmp_ge_i32 s6, s8
	s_cbranch_scc1 .LBB34_31
.LBB34_3:                               ; =>This Loop Header: Depth=1
                                        ;     Child Loop BB34_6 Depth 2
                                        ;       Child Loop BB34_21 Depth 3
	s_andn2_b32 vcc_lo, exec_lo, s11
	s_cbranch_vccnz .LBB34_2
; %bb.4:                                ;   in Loop: Header=BB34_3 Depth=1
	v_add_nc_u32_e32 v25, s6, v1
	v_mov_b32_e32 v6, 0
	v_mov_b32_e32 v7, 0
	s_mov_b32 s18, 0
	s_mov_b32 s19, s7
	v_mul_lo_u32 v2, v25, s9
	v_cmp_gt_i32_e32 vcc_lo, s8, v25
	v_ashrrev_i32_e32 v3, 31, v2
	v_add_co_u32 v19, s1, s12, v2
	v_lshlrev_b64 v[4:5], 3, v[2:3]
	v_add_co_ci_u32_e64 v20, null, s13, v3, s1
	v_add_co_u32 v21, s1, s14, v2
	v_add_co_ci_u32_e64 v22, null, s15, v3, s1
	v_add_co_u32 v23, s1, s4, v4
	v_add_co_ci_u32_e64 v24, null, s5, v5, s1
	v_cmp_le_i32_e64 s1, s8, v25
	s_branch .LBB34_6
.LBB34_5:                               ;   in Loop: Header=BB34_6 Depth=2
	s_or_b32 exec_lo, exec_lo, s19
	ds_read_u8 v2, v18
	ds_read_b64 v[6:7], v15
	s_add_i32 s18, s18, s16
	s_waitcnt lgkmcnt(0)
	s_waitcnt_vscnt null, 0x0
	s_cmp_ge_i32 s18, s9
	s_barrier
	buffer_gl0_inv
	v_and_b32_e32 v2, 1, v2
	v_cmp_eq_u32_e64 s19, 1, v2
	s_cbranch_scc1 .LBB34_2
.LBB34_6:                               ;   Parent Loop BB34_3 Depth=1
                                        ; =>  This Loop Header: Depth=2
                                        ;       Child Loop BB34_21 Depth 3
	v_add_nc_u32_e32 v4, s18, v0
	v_add_nc_u32_e32 v2, s18, v9
	s_and_saveexec_b32 s20, vcc_lo
	s_cbranch_execz .LBB34_18
; %bb.7:                                ;   in Loop: Header=BB34_6 Depth=2
	v_cmp_le_i32_e64 s2, s9, v4
	s_and_saveexec_b32 s21, s2
	s_xor_b32 s2, exec_lo, s21
; %bb.8:                                ;   in Loop: Header=BB34_6 Depth=2
	v_mov_b32_e32 v3, s3
	ds_write_b8 v13, v3
; %bb.9:                                ;   in Loop: Header=BB34_6 Depth=2
	s_andn2_saveexec_b32 s21, s2
	s_cbranch_execz .LBB34_11
; %bb.10:                               ;   in Loop: Header=BB34_6 Depth=2
	v_ashrrev_i32_e32 v5, 31, v4
	v_add_co_u32 v25, s2, v19, v4
	v_add_co_ci_u32_e64 v26, null, v20, v5, s2
	global_load_ubyte v3, v[25:26], off
	s_waitcnt vmcnt(0)
	v_cmp_ne_u16_e64 s2, 0, v3
	v_cndmask_b32_e64 v3, 0, 1, s2
	ds_write_b8 v13, v3
	ds_write_b64 v12, v[4:5]
.LBB34_11:                              ;   in Loop: Header=BB34_6 Depth=2
	s_or_b32 exec_lo, exec_lo, s21
	v_cmp_le_i32_e64 s2, s9, v2
	s_and_saveexec_b32 s21, s2
	s_xor_b32 s2, exec_lo, s21
	s_cbranch_execnz .LBB34_14
; %bb.12:                               ;   in Loop: Header=BB34_6 Depth=2
	s_andn2_saveexec_b32 s21, s2
	s_cbranch_execnz .LBB34_15
.LBB34_13:                              ;   in Loop: Header=BB34_6 Depth=2
	s_or_b32 exec_lo, exec_lo, s21
	s_and_b32 exec_lo, exec_lo, s0
	s_cbranch_execnz .LBB34_16
	s_branch .LBB34_18
.LBB34_14:                              ;   in Loop: Header=BB34_6 Depth=2
	v_mov_b32_e32 v3, s3
	ds_write_b8 v16, v3
	s_andn2_saveexec_b32 s21, s2
	s_cbranch_execz .LBB34_13
.LBB34_15:                              ;   in Loop: Header=BB34_6 Depth=2
	v_ashrrev_i32_e32 v3, 31, v2
	v_add_co_u32 v25, s2, v19, v2
	v_add_co_ci_u32_e64 v26, null, v20, v3, s2
	global_load_ubyte v5, v[25:26], off
	s_waitcnt vmcnt(0)
	v_cmp_ne_u16_e64 s2, 0, v5
	v_cndmask_b32_e64 v5, 0, 1, s2
	ds_write_b8 v14, v5
	ds_write_b64 v17, v[2:3]
	s_or_b32 exec_lo, exec_lo, s21
	s_and_b32 exec_lo, exec_lo, s0
	s_cbranch_execz .LBB34_18
.LBB34_16:                              ;   in Loop: Header=BB34_6 Depth=2
	ds_read_u8 v3, v10
	v_cndmask_b32_e64 v5, 0, 1, s19
	s_waitcnt lgkmcnt(0)
	v_cmp_gt_u16_e64 s2, v3, v5
	s_and_b32 exec_lo, exec_lo, s2
	s_cbranch_execz .LBB34_18
; %bb.17:                               ;   in Loop: Header=BB34_6 Depth=2
	ds_write_b8 v10, v8
	ds_write_b64 v11, v[6:7]
.LBB34_18:                              ;   in Loop: Header=BB34_6 Depth=2
	s_or_b32 exec_lo, exec_lo, s20
	v_mov_b32_e32 v3, 1
	s_mov_b32 s19, 0
	s_waitcnt lgkmcnt(0)
	s_barrier
	buffer_gl0_inv
	s_inst_prefetch 0x1
	s_branch .LBB34_21
	.p2align	6
.LBB34_19:                              ;   in Loop: Header=BB34_21 Depth=3
	s_or_b32 exec_lo, exec_lo, s21
	v_mov_b32_e32 v3, v5
.LBB34_20:                              ;   in Loop: Header=BB34_21 Depth=3
	s_or_b32 exec_lo, exec_lo, s20
	v_cmp_lt_u32_e64 s2, s10, v3
	s_waitcnt lgkmcnt(0)
	s_barrier
	buffer_gl0_inv
	s_or_b32 s19, s2, s19
	s_andn2_b32 exec_lo, exec_lo, s19
	s_cbranch_execz .LBB34_26
.LBB34_21:                              ;   Parent Loop BB34_3 Depth=1
                                        ;     Parent Loop BB34_6 Depth=2
                                        ; =>    This Inner Loop Header: Depth=3
	v_lshlrev_b32_e32 v5, 1, v3
	s_and_saveexec_b32 s2, s1
	s_xor_b32 s2, exec_lo, s2
; %bb.22:                               ;   in Loop: Header=BB34_21 Depth=3
	v_lshlrev_b32_e32 v3, 1, v3
                                        ; implicit-def: $vgpr5
; %bb.23:                               ;   in Loop: Header=BB34_21 Depth=3
	s_andn2_saveexec_b32 s20, s2
	s_cbranch_execz .LBB34_20
; %bb.24:                               ;   in Loop: Header=BB34_21 Depth=3
	v_ffbl_b32_e32 v6, v3
	v_add_nc_u32_e32 v7, -1, v3
	s_mov_b32 s21, exec_lo
	v_lshrrev_b32_e32 v6, v6, v0
	v_mad_u64_u32 v[25:26], null, v5, v6, v[3:4]
	v_and_b32_e32 v3, v7, v0
	v_add_nc_u32_e32 v6, -1, v25
	v_add_nc_u32_e32 v3, v25, v3
	v_add_nc_u32_e32 v25, v10, v6
	;; [unrolled: 1-line block ×3, first 2 shown]
	ds_read_u8 v25, v25
	ds_read_u8 v26, v7
	s_waitcnt lgkmcnt(0)
	v_cmpx_gt_u16_e64 v26, v25
	s_cbranch_execz .LBB34_19
; %bb.25:                               ;   in Loop: Header=BB34_21 Depth=3
	v_lshl_add_u32 v6, v6, 3, v11
	v_lshl_add_u32 v3, v3, 3, v11
	ds_read_b64 v[25:26], v6
	ds_write_b8 v7, v8
	s_waitcnt lgkmcnt(1)
	ds_write_b64 v3, v[25:26]
	s_branch .LBB34_19
.LBB34_26:                              ;   in Loop: Header=BB34_6 Depth=2
	s_inst_prefetch 0x2
	s_or_b32 exec_lo, exec_lo, s19
	s_and_saveexec_b32 s19, vcc_lo
	s_cbranch_execz .LBB34_5
; %bb.27:                               ;   in Loop: Header=BB34_6 Depth=2
	s_mov_b32 s20, exec_lo
	v_cmpx_gt_i32_e64 s9, v4
	s_cbranch_execz .LBB34_29
; %bb.28:                               ;   in Loop: Header=BB34_6 Depth=2
	ds_read_u8 v27, v13
	ds_read_b64 v[6:7], v12
	v_ashrrev_i32_e32 v5, 31, v4
	v_add_co_u32 v3, s2, v21, v4
	v_lshlrev_b64 v[25:26], 3, v[4:5]
	v_add_co_ci_u32_e64 v4, null, v22, v5, s2
	v_add_co_u32 v25, s2, v23, v25
	v_add_co_ci_u32_e64 v26, null, v24, v26, s2
	s_waitcnt lgkmcnt(1)
	global_store_byte v[3:4], v27, off
	s_waitcnt lgkmcnt(0)
	global_store_dwordx2 v[25:26], v[6:7], off
.LBB34_29:                              ;   in Loop: Header=BB34_6 Depth=2
	s_or_b32 exec_lo, exec_lo, s20
	v_cmp_gt_i32_e64 s2, s9, v2
	s_and_b32 exec_lo, exec_lo, s2
	s_cbranch_execz .LBB34_5
; %bb.30:                               ;   in Loop: Header=BB34_6 Depth=2
	ds_read_u8 v25, v14
	ds_read_b64 v[4:5], v17
	v_ashrrev_i32_e32 v3, 31, v2
	v_lshlrev_b64 v[6:7], 3, v[2:3]
	v_add_co_u32 v2, s2, v21, v2
	v_add_co_ci_u32_e64 v3, null, v22, v3, s2
	v_add_co_u32 v6, s2, v23, v6
	v_add_co_ci_u32_e64 v7, null, v24, v7, s2
	s_waitcnt lgkmcnt(1)
	global_store_byte v[2:3], v25, off
	s_waitcnt lgkmcnt(0)
	global_store_dwordx2 v[6:7], v[4:5], off
	s_branch .LBB34_5
.LBB34_31:
	s_endpgm
	.section	.rodata,"a",@progbits
	.p2align	6, 0x0
	.amdhsa_kernel _ZN2at6native45tensor_kernel_scan_innermost_dim_with_indicesIbSt10less_equalIbEEEvPKT_PS4_PliijjS4_T0_
		.amdhsa_group_segment_fixed_size 0
		.amdhsa_private_segment_fixed_size 0
		.amdhsa_kernarg_size 304
		.amdhsa_user_sgpr_count 6
		.amdhsa_user_sgpr_private_segment_buffer 1
		.amdhsa_user_sgpr_dispatch_ptr 0
		.amdhsa_user_sgpr_queue_ptr 0
		.amdhsa_user_sgpr_kernarg_segment_ptr 1
		.amdhsa_user_sgpr_dispatch_id 0
		.amdhsa_user_sgpr_flat_scratch_init 0
		.amdhsa_user_sgpr_private_segment_size 0
		.amdhsa_wavefront_size32 1
		.amdhsa_uses_dynamic_stack 0
		.amdhsa_system_sgpr_private_segment_wavefront_offset 0
		.amdhsa_system_sgpr_workgroup_id_x 1
		.amdhsa_system_sgpr_workgroup_id_y 0
		.amdhsa_system_sgpr_workgroup_id_z 0
		.amdhsa_system_sgpr_workgroup_info 0
		.amdhsa_system_vgpr_workitem_id 1
		.amdhsa_next_free_vgpr 28
		.amdhsa_next_free_sgpr 22
		.amdhsa_reserve_vcc 1
		.amdhsa_reserve_flat_scratch 0
		.amdhsa_float_round_mode_32 0
		.amdhsa_float_round_mode_16_64 0
		.amdhsa_float_denorm_mode_32 3
		.amdhsa_float_denorm_mode_16_64 3
		.amdhsa_dx10_clamp 1
		.amdhsa_ieee_mode 1
		.amdhsa_fp16_overflow 0
		.amdhsa_workgroup_processor_mode 1
		.amdhsa_memory_ordered 1
		.amdhsa_forward_progress 1
		.amdhsa_shared_vgpr_count 0
		.amdhsa_exception_fp_ieee_invalid_op 0
		.amdhsa_exception_fp_denorm_src 0
		.amdhsa_exception_fp_ieee_div_zero 0
		.amdhsa_exception_fp_ieee_overflow 0
		.amdhsa_exception_fp_ieee_underflow 0
		.amdhsa_exception_fp_ieee_inexact 0
		.amdhsa_exception_int_div_zero 0
	.end_amdhsa_kernel
	.section	.text._ZN2at6native45tensor_kernel_scan_innermost_dim_with_indicesIbSt10less_equalIbEEEvPKT_PS4_PliijjS4_T0_,"axG",@progbits,_ZN2at6native45tensor_kernel_scan_innermost_dim_with_indicesIbSt10less_equalIbEEEvPKT_PS4_PliijjS4_T0_,comdat
.Lfunc_end34:
	.size	_ZN2at6native45tensor_kernel_scan_innermost_dim_with_indicesIbSt10less_equalIbEEEvPKT_PS4_PliijjS4_T0_, .Lfunc_end34-_ZN2at6native45tensor_kernel_scan_innermost_dim_with_indicesIbSt10less_equalIbEEEvPKT_PS4_PliijjS4_T0_
                                        ; -- End function
	.set _ZN2at6native45tensor_kernel_scan_innermost_dim_with_indicesIbSt10less_equalIbEEEvPKT_PS4_PliijjS4_T0_.num_vgpr, 28
	.set _ZN2at6native45tensor_kernel_scan_innermost_dim_with_indicesIbSt10less_equalIbEEEvPKT_PS4_PliijjS4_T0_.num_agpr, 0
	.set _ZN2at6native45tensor_kernel_scan_innermost_dim_with_indicesIbSt10less_equalIbEEEvPKT_PS4_PliijjS4_T0_.numbered_sgpr, 22
	.set _ZN2at6native45tensor_kernel_scan_innermost_dim_with_indicesIbSt10less_equalIbEEEvPKT_PS4_PliijjS4_T0_.num_named_barrier, 0
	.set _ZN2at6native45tensor_kernel_scan_innermost_dim_with_indicesIbSt10less_equalIbEEEvPKT_PS4_PliijjS4_T0_.private_seg_size, 0
	.set _ZN2at6native45tensor_kernel_scan_innermost_dim_with_indicesIbSt10less_equalIbEEEvPKT_PS4_PliijjS4_T0_.uses_vcc, 1
	.set _ZN2at6native45tensor_kernel_scan_innermost_dim_with_indicesIbSt10less_equalIbEEEvPKT_PS4_PliijjS4_T0_.uses_flat_scratch, 0
	.set _ZN2at6native45tensor_kernel_scan_innermost_dim_with_indicesIbSt10less_equalIbEEEvPKT_PS4_PliijjS4_T0_.has_dyn_sized_stack, 0
	.set _ZN2at6native45tensor_kernel_scan_innermost_dim_with_indicesIbSt10less_equalIbEEEvPKT_PS4_PliijjS4_T0_.has_recursion, 0
	.set _ZN2at6native45tensor_kernel_scan_innermost_dim_with_indicesIbSt10less_equalIbEEEvPKT_PS4_PliijjS4_T0_.has_indirect_call, 0
	.section	.AMDGPU.csdata,"",@progbits
; Kernel info:
; codeLenInByte = 1192
; TotalNumSgprs: 24
; NumVgprs: 28
; ScratchSize: 0
; MemoryBound: 0
; FloatMode: 240
; IeeeMode: 1
; LDSByteSize: 0 bytes/workgroup (compile time only)
; SGPRBlocks: 0
; VGPRBlocks: 3
; NumSGPRsForWavesPerEU: 24
; NumVGPRsForWavesPerEU: 28
; Occupancy: 16
; WaveLimiterHint : 0
; COMPUTE_PGM_RSRC2:SCRATCH_EN: 0
; COMPUTE_PGM_RSRC2:USER_SGPR: 6
; COMPUTE_PGM_RSRC2:TRAP_HANDLER: 0
; COMPUTE_PGM_RSRC2:TGID_X_EN: 1
; COMPUTE_PGM_RSRC2:TGID_Y_EN: 0
; COMPUTE_PGM_RSRC2:TGID_Z_EN: 0
; COMPUTE_PGM_RSRC2:TIDIG_COMP_CNT: 1
	.section	.text._ZN2at6native41tensor_kernel_scan_outer_dim_with_indicesIbSt10less_equalIbEEEvPKT_PS4_PljjjS4_T0_,"axG",@progbits,_ZN2at6native41tensor_kernel_scan_outer_dim_with_indicesIbSt10less_equalIbEEEvPKT_PS4_PljjjS4_T0_,comdat
	.protected	_ZN2at6native41tensor_kernel_scan_outer_dim_with_indicesIbSt10less_equalIbEEEvPKT_PS4_PljjjS4_T0_ ; -- Begin function _ZN2at6native41tensor_kernel_scan_outer_dim_with_indicesIbSt10less_equalIbEEEvPKT_PS4_PljjjS4_T0_
	.globl	_ZN2at6native41tensor_kernel_scan_outer_dim_with_indicesIbSt10less_equalIbEEEvPKT_PS4_PljjjS4_T0_
	.p2align	8
	.type	_ZN2at6native41tensor_kernel_scan_outer_dim_with_indicesIbSt10less_equalIbEEEvPKT_PS4_PljjjS4_T0_,@function
_ZN2at6native41tensor_kernel_scan_outer_dim_with_indicesIbSt10less_equalIbEEEvPKT_PS4_PljjjS4_T0_: ; @_ZN2at6native41tensor_kernel_scan_outer_dim_with_indicesIbSt10less_equalIbEEEvPKT_PS4_PljjjS4_T0_
; %bb.0:
	s_load_dwordx4 s[8:11], s[4:5], 0x18
	s_waitcnt lgkmcnt(0)
	s_cmp_ge_u32 s6, s8
	s_cbranch_scc1 .LBB35_9
; %bb.1:
	s_clause 0x3
	s_load_dword s0, s[4:5], 0x34
	s_load_dword s1, s[4:5], 0x28
	s_load_dwordx4 s[12:15], s[4:5], 0x0
	s_load_dwordx2 s[2:3], s[4:5], 0x10
	s_and_b32 s11, s11, 1
	s_add_u32 s4, s4, 40
	s_addc_u32 s5, s5, 0
	s_mov_b32 s17, 0
	v_mov_b32_e32 v2, 0
	s_mov_b32 s18, s9
	s_mul_i32 s16, s6, s10
	s_mov_b32 s19, s17
	s_mul_i32 s16, s16, s9
	s_waitcnt lgkmcnt(0)
	s_and_b32 s24, s0, 0xffff
	s_cmp_lg_u32 s10, 0
	v_mad_u64_u32 v[0:1], null, s7, s24, v[0:1]
	s_mul_i32 s25, s1, s10
	s_cselect_b32 s7, -1, 0
	s_mul_i32 s25, s25, s9
	s_lshl_b64 s[20:21], s[18:19], 3
	v_cmp_gt_u32_e64 s0, s9, v0
	s_branch .LBB35_3
.LBB35_2:                               ;   in Loop: Header=BB35_3 Depth=1
	s_or_b32 exec_lo, exec_lo, s19
	s_add_i32 s6, s1, s6
	s_add_i32 s16, s16, s25
	s_cmp_ge_u32 s6, s8
	s_cbranch_scc1 .LBB35_9
.LBB35_3:                               ; =>This Loop Header: Depth=1
                                        ;     Child Loop BB35_6 Depth 2
                                        ;       Child Loop BB35_8 Depth 3
	s_and_saveexec_b32 s19, s0
	s_cbranch_execz .LBB35_2
; %bb.4:                                ;   in Loop: Header=BB35_3 Depth=1
	s_load_dword s28, s[4:5], 0x4
	s_lshl_b64 s[22:23], s[16:17], 3
	v_mov_b32_e32 v1, v0
	s_add_u32 s26, s2, s22
	s_addc_u32 s27, s3, s23
	s_mov_b32 s29, 0
	s_waitcnt lgkmcnt(0)
	s_mul_i32 s28, s28, s24
	s_branch .LBB35_6
.LBB35_5:                               ;   in Loop: Header=BB35_6 Depth=2
	s_inst_prefetch 0x2
	v_add_nc_u32_e32 v1, s28, v1
	v_cmp_le_u32_e32 vcc_lo, s9, v1
	s_or_b32 s29, vcc_lo, s29
	s_andn2_b32 exec_lo, exec_lo, s29
	s_cbranch_execz .LBB35_2
.LBB35_6:                               ;   Parent Loop BB35_3 Depth=1
                                        ; =>  This Loop Header: Depth=2
                                        ;       Child Loop BB35_8 Depth 3
	s_andn2_b32 vcc_lo, exec_lo, s7
	s_cbranch_vccnz .LBB35_5
; %bb.7:                                ;   in Loop: Header=BB35_6 Depth=2
	v_lshlrev_b64 v[3:4], 3, v[1:2]
	v_add_co_u32 v7, s22, s16, v1
	v_mov_b32_e32 v5, 0
	v_add_co_ci_u32_e64 v8, null, 0, 0, s22
	v_add_co_u32 v3, vcc_lo, s26, v3
	v_add_co_ci_u32_e64 v4, null, s27, v4, vcc_lo
	v_mov_b32_e32 v6, 0
	v_mov_b32_e32 v9, s11
	s_mov_b64 s[22:23], 0
	s_inst_prefetch 0x1
	.p2align	6
.LBB35_8:                               ;   Parent Loop BB35_3 Depth=1
                                        ;     Parent Loop BB35_6 Depth=2
                                        ; =>    This Inner Loop Header: Depth=3
	v_add_co_u32 v10, vcc_lo, s12, v7
	v_add_co_ci_u32_e64 v11, null, s13, v8, vcc_lo
	global_load_ubyte v12, v[10:11], off
	v_add_co_u32 v10, vcc_lo, s14, v7
	v_add_co_ci_u32_e64 v11, null, s15, v8, vcc_lo
	v_add_co_u32 v7, vcc_lo, v7, s18
	v_add_co_ci_u32_e64 v8, null, 0, v8, vcc_lo
	s_waitcnt vmcnt(0)
	v_cmp_ne_u16_e32 vcc_lo, 0, v12
	v_cndmask_b32_e64 v12, 0, 1, vcc_lo
	v_cmp_lt_u16_sdwa vcc_lo, v9, v12 src0_sel:BYTE_0 src1_sel:DWORD
	v_cndmask_b32_e32 v6, s23, v6, vcc_lo
	v_cndmask_b32_e32 v5, s22, v5, vcc_lo
	v_cndmask_b32_e64 v9, v12, 0, vcc_lo
	s_add_u32 s22, s22, 1
	s_addc_u32 s23, s23, 0
	s_cmp_eq_u32 s10, s22
	global_store_dwordx2 v[3:4], v[5:6], off
	v_add_co_u32 v3, vcc_lo, v3, s20
	v_add_co_ci_u32_e64 v4, null, s21, v4, vcc_lo
	global_store_byte v[10:11], v9, off
	s_cbranch_scc0 .LBB35_8
	s_branch .LBB35_5
.LBB35_9:
	s_endpgm
	.section	.rodata,"a",@progbits
	.p2align	6, 0x0
	.amdhsa_kernel _ZN2at6native41tensor_kernel_scan_outer_dim_with_indicesIbSt10less_equalIbEEEvPKT_PS4_PljjjS4_T0_
		.amdhsa_group_segment_fixed_size 0
		.amdhsa_private_segment_fixed_size 0
		.amdhsa_kernarg_size 296
		.amdhsa_user_sgpr_count 6
		.amdhsa_user_sgpr_private_segment_buffer 1
		.amdhsa_user_sgpr_dispatch_ptr 0
		.amdhsa_user_sgpr_queue_ptr 0
		.amdhsa_user_sgpr_kernarg_segment_ptr 1
		.amdhsa_user_sgpr_dispatch_id 0
		.amdhsa_user_sgpr_flat_scratch_init 0
		.amdhsa_user_sgpr_private_segment_size 0
		.amdhsa_wavefront_size32 1
		.amdhsa_uses_dynamic_stack 0
		.amdhsa_system_sgpr_private_segment_wavefront_offset 0
		.amdhsa_system_sgpr_workgroup_id_x 1
		.amdhsa_system_sgpr_workgroup_id_y 1
		.amdhsa_system_sgpr_workgroup_id_z 0
		.amdhsa_system_sgpr_workgroup_info 0
		.amdhsa_system_vgpr_workitem_id 0
		.amdhsa_next_free_vgpr 13
		.amdhsa_next_free_sgpr 30
		.amdhsa_reserve_vcc 1
		.amdhsa_reserve_flat_scratch 0
		.amdhsa_float_round_mode_32 0
		.amdhsa_float_round_mode_16_64 0
		.amdhsa_float_denorm_mode_32 3
		.amdhsa_float_denorm_mode_16_64 3
		.amdhsa_dx10_clamp 1
		.amdhsa_ieee_mode 1
		.amdhsa_fp16_overflow 0
		.amdhsa_workgroup_processor_mode 1
		.amdhsa_memory_ordered 1
		.amdhsa_forward_progress 1
		.amdhsa_shared_vgpr_count 0
		.amdhsa_exception_fp_ieee_invalid_op 0
		.amdhsa_exception_fp_denorm_src 0
		.amdhsa_exception_fp_ieee_div_zero 0
		.amdhsa_exception_fp_ieee_overflow 0
		.amdhsa_exception_fp_ieee_underflow 0
		.amdhsa_exception_fp_ieee_inexact 0
		.amdhsa_exception_int_div_zero 0
	.end_amdhsa_kernel
	.section	.text._ZN2at6native41tensor_kernel_scan_outer_dim_with_indicesIbSt10less_equalIbEEEvPKT_PS4_PljjjS4_T0_,"axG",@progbits,_ZN2at6native41tensor_kernel_scan_outer_dim_with_indicesIbSt10less_equalIbEEEvPKT_PS4_PljjjS4_T0_,comdat
.Lfunc_end35:
	.size	_ZN2at6native41tensor_kernel_scan_outer_dim_with_indicesIbSt10less_equalIbEEEvPKT_PS4_PljjjS4_T0_, .Lfunc_end35-_ZN2at6native41tensor_kernel_scan_outer_dim_with_indicesIbSt10less_equalIbEEEvPKT_PS4_PljjjS4_T0_
                                        ; -- End function
	.set _ZN2at6native41tensor_kernel_scan_outer_dim_with_indicesIbSt10less_equalIbEEEvPKT_PS4_PljjjS4_T0_.num_vgpr, 13
	.set _ZN2at6native41tensor_kernel_scan_outer_dim_with_indicesIbSt10less_equalIbEEEvPKT_PS4_PljjjS4_T0_.num_agpr, 0
	.set _ZN2at6native41tensor_kernel_scan_outer_dim_with_indicesIbSt10less_equalIbEEEvPKT_PS4_PljjjS4_T0_.numbered_sgpr, 30
	.set _ZN2at6native41tensor_kernel_scan_outer_dim_with_indicesIbSt10less_equalIbEEEvPKT_PS4_PljjjS4_T0_.num_named_barrier, 0
	.set _ZN2at6native41tensor_kernel_scan_outer_dim_with_indicesIbSt10less_equalIbEEEvPKT_PS4_PljjjS4_T0_.private_seg_size, 0
	.set _ZN2at6native41tensor_kernel_scan_outer_dim_with_indicesIbSt10less_equalIbEEEvPKT_PS4_PljjjS4_T0_.uses_vcc, 1
	.set _ZN2at6native41tensor_kernel_scan_outer_dim_with_indicesIbSt10less_equalIbEEEvPKT_PS4_PljjjS4_T0_.uses_flat_scratch, 0
	.set _ZN2at6native41tensor_kernel_scan_outer_dim_with_indicesIbSt10less_equalIbEEEvPKT_PS4_PljjjS4_T0_.has_dyn_sized_stack, 0
	.set _ZN2at6native41tensor_kernel_scan_outer_dim_with_indicesIbSt10less_equalIbEEEvPKT_PS4_PljjjS4_T0_.has_recursion, 0
	.set _ZN2at6native41tensor_kernel_scan_outer_dim_with_indicesIbSt10less_equalIbEEEvPKT_PS4_PljjjS4_T0_.has_indirect_call, 0
	.section	.AMDGPU.csdata,"",@progbits
; Kernel info:
; codeLenInByte = 472
; TotalNumSgprs: 32
; NumVgprs: 13
; ScratchSize: 0
; MemoryBound: 0
; FloatMode: 240
; IeeeMode: 1
; LDSByteSize: 0 bytes/workgroup (compile time only)
; SGPRBlocks: 0
; VGPRBlocks: 1
; NumSGPRsForWavesPerEU: 32
; NumVGPRsForWavesPerEU: 13
; Occupancy: 16
; WaveLimiterHint : 0
; COMPUTE_PGM_RSRC2:SCRATCH_EN: 0
; COMPUTE_PGM_RSRC2:USER_SGPR: 6
; COMPUTE_PGM_RSRC2:TRAP_HANDLER: 0
; COMPUTE_PGM_RSRC2:TGID_X_EN: 1
; COMPUTE_PGM_RSRC2:TGID_Y_EN: 1
; COMPUTE_PGM_RSRC2:TGID_Z_EN: 0
; COMPUTE_PGM_RSRC2:TIDIG_COMP_CNT: 0
	.section	.text._ZN2at6native45tensor_kernel_scan_innermost_dim_with_indicesIN3c104HalfESt10less_equalIS3_EEEvPKT_PS6_PliijjS6_T0_,"axG",@progbits,_ZN2at6native45tensor_kernel_scan_innermost_dim_with_indicesIN3c104HalfESt10less_equalIS3_EEEvPKT_PS6_PliijjS6_T0_,comdat
	.protected	_ZN2at6native45tensor_kernel_scan_innermost_dim_with_indicesIN3c104HalfESt10less_equalIS3_EEEvPKT_PS6_PliijjS6_T0_ ; -- Begin function _ZN2at6native45tensor_kernel_scan_innermost_dim_with_indicesIN3c104HalfESt10less_equalIS3_EEEvPKT_PS6_PliijjS6_T0_
	.globl	_ZN2at6native45tensor_kernel_scan_innermost_dim_with_indicesIN3c104HalfESt10less_equalIS3_EEEvPKT_PS6_PliijjS6_T0_
	.p2align	8
	.type	_ZN2at6native45tensor_kernel_scan_innermost_dim_with_indicesIN3c104HalfESt10less_equalIS3_EEEvPKT_PS6_PliijjS6_T0_,@function
_ZN2at6native45tensor_kernel_scan_innermost_dim_with_indicesIN3c104HalfESt10less_equalIS3_EEEvPKT_PS6_PliijjS6_T0_: ; @_ZN2at6native45tensor_kernel_scan_innermost_dim_with_indicesIN3c104HalfESt10less_equalIS3_EEEvPKT_PS6_PliijjS6_T0_
; %bb.0:
	s_clause 0x1
	s_load_dword s2, s[4:5], 0x3c
	s_load_dwordx4 s[8:11], s[4:5], 0x18
	s_add_u32 s0, s4, 48
	s_addc_u32 s1, s5, 0
	s_waitcnt lgkmcnt(0)
	s_lshr_b32 s2, s2, 16
	s_mul_i32 s6, s6, s2
	s_cmp_ge_i32 s6, s8
	s_cbranch_scc1 .LBB36_31
; %bb.1:
	s_lshl_b32 s7, 2, s11
	s_clause 0x2
	s_load_dword s16, s[4:5], 0x28
	s_load_dwordx4 s[12:15], s[4:5], 0x0
	s_load_dwordx2 s[4:5], s[4:5], 0x10
	s_load_dword s17, s[0:1], 0x0
	v_mul_lo_u32 v2, s7, v1
	s_lshl_b32 s0, s10, 2
	s_lshl_b32 s10, 1, s11
	s_cmp_gt_i32 s9, 0
	s_cselect_b32 s11, -1, 0
	s_add_i32 s1, s7, -1
	v_lshlrev_b32_e32 v3, 3, v2
	v_lshl_add_u32 v8, v2, 1, 0
	v_add3_u32 v9, 0, s0, v3
	v_lshl_add_u32 v10, v0, 1, v8
	v_cmp_eq_u32_e64 s0, 0, v0
	v_lshl_add_u32 v12, s1, 1, v8
	v_lshl_add_u32 v11, v0, 3, v9
	;; [unrolled: 1-line block ×4, first 2 shown]
	s_waitcnt lgkmcnt(0)
	s_mul_i32 s17, s17, s2
	v_lshl_add_u32 v15, s10, 3, v11
	s_branch .LBB36_3
.LBB36_2:                               ;   in Loop: Header=BB36_3 Depth=1
	s_add_i32 s6, s17, s6
	s_cmp_ge_i32 s6, s8
	s_cbranch_scc1 .LBB36_31
.LBB36_3:                               ; =>This Loop Header: Depth=1
                                        ;     Child Loop BB36_6 Depth 2
                                        ;       Child Loop BB36_21 Depth 3
	s_andn2_b32 vcc_lo, exec_lo, s11
	s_cbranch_vccnz .LBB36_2
; %bb.4:                                ;   in Loop: Header=BB36_3 Depth=1
	v_add_nc_u32_e32 v16, s6, v1
	v_mov_b32_e32 v6, 0
	v_mov_b32_e32 v7, 0
	;; [unrolled: 1-line block ×3, first 2 shown]
	s_mov_b32 s18, 0
	v_mul_lo_u32 v2, v16, s9
	v_cmp_gt_i32_e32 vcc_lo, s8, v16
	v_cmp_le_i32_e64 s1, s8, v16
	v_ashrrev_i32_e32 v3, 31, v2
	v_lshlrev_b64 v[4:5], 1, v[2:3]
	v_lshlrev_b64 v[2:3], 3, v[2:3]
	v_add_co_u32 v16, s2, s12, v4
	v_add_co_ci_u32_e64 v17, null, s13, v5, s2
	v_add_co_u32 v18, s2, s14, v4
	v_add_co_ci_u32_e64 v19, null, s15, v5, s2
	;; [unrolled: 2-line block ×3, first 2 shown]
	s_branch .LBB36_6
.LBB36_5:                               ;   in Loop: Header=BB36_6 Depth=2
	s_or_b32 exec_lo, exec_lo, s3
	ds_read_u16 v22, v12
	ds_read_b64 v[6:7], v14
	s_add_i32 s18, s18, s7
	s_waitcnt lgkmcnt(0)
	s_waitcnt_vscnt null, 0x0
	s_cmp_ge_i32 s18, s9
	s_barrier
	buffer_gl0_inv
	s_cbranch_scc1 .LBB36_2
.LBB36_6:                               ;   Parent Loop BB36_3 Depth=1
                                        ; =>  This Loop Header: Depth=2
                                        ;       Child Loop BB36_21 Depth 3
	v_add_nc_u32_e32 v4, s18, v0
	v_add_nc_u32_e32 v2, s10, v4
	s_and_saveexec_b32 s19, vcc_lo
	s_cbranch_execz .LBB36_18
; %bb.7:                                ;   in Loop: Header=BB36_6 Depth=2
	v_cmp_le_i32_e64 s2, s9, v4
	s_and_saveexec_b32 s3, s2
	s_xor_b32 s2, exec_lo, s3
; %bb.8:                                ;   in Loop: Header=BB36_6 Depth=2
	v_mov_b32_e32 v3, s16
	ds_write_b16 v10, v3
; %bb.9:                                ;   in Loop: Header=BB36_6 Depth=2
	s_andn2_saveexec_b32 s3, s2
	s_cbranch_execz .LBB36_11
; %bb.10:                               ;   in Loop: Header=BB36_6 Depth=2
	v_ashrrev_i32_e32 v5, 31, v4
	v_lshlrev_b64 v[23:24], 1, v[4:5]
	v_add_co_u32 v23, s2, v16, v23
	v_add_co_ci_u32_e64 v24, null, v17, v24, s2
	global_load_ushort v3, v[23:24], off
	s_waitcnt vmcnt(0)
	ds_write_b16 v10, v3
	ds_write_b64 v11, v[4:5]
.LBB36_11:                              ;   in Loop: Header=BB36_6 Depth=2
	s_or_b32 exec_lo, exec_lo, s3
	v_cmp_le_i32_e64 s2, s9, v2
	s_and_saveexec_b32 s3, s2
	s_xor_b32 s2, exec_lo, s3
	s_cbranch_execnz .LBB36_14
; %bb.12:                               ;   in Loop: Header=BB36_6 Depth=2
	s_andn2_saveexec_b32 s3, s2
	s_cbranch_execnz .LBB36_15
.LBB36_13:                              ;   in Loop: Header=BB36_6 Depth=2
	s_or_b32 exec_lo, exec_lo, s3
	s_and_b32 exec_lo, exec_lo, s0
	s_cbranch_execnz .LBB36_16
	s_branch .LBB36_18
.LBB36_14:                              ;   in Loop: Header=BB36_6 Depth=2
	v_mov_b32_e32 v3, s16
	ds_write_b16 v13, v3
	s_andn2_saveexec_b32 s3, s2
	s_cbranch_execz .LBB36_13
.LBB36_15:                              ;   in Loop: Header=BB36_6 Depth=2
	v_ashrrev_i32_e32 v3, 31, v2
	v_lshlrev_b64 v[23:24], 1, v[2:3]
	v_add_co_u32 v23, s2, v16, v23
	v_add_co_ci_u32_e64 v24, null, v17, v24, s2
	global_load_ushort v5, v[23:24], off
	s_waitcnt vmcnt(0)
	ds_write_b16 v13, v5
	ds_write_b64 v15, v[2:3]
	s_or_b32 exec_lo, exec_lo, s3
	s_and_b32 exec_lo, exec_lo, s0
	s_cbranch_execz .LBB36_18
.LBB36_16:                              ;   in Loop: Header=BB36_6 Depth=2
	ds_read_u16 v3, v8
	s_waitcnt lgkmcnt(0)
	v_cmp_o_f16_e64 s2, v3, v3
	v_cmp_nle_f16_e64 s3, v3, v22
	s_and_b32 s2, s2, s3
	s_and_b32 exec_lo, exec_lo, s2
	s_cbranch_execz .LBB36_18
; %bb.17:                               ;   in Loop: Header=BB36_6 Depth=2
	ds_write_b16 v8, v22
	ds_write_b64 v9, v[6:7]
.LBB36_18:                              ;   in Loop: Header=BB36_6 Depth=2
	s_or_b32 exec_lo, exec_lo, s19
	v_mov_b32_e32 v3, 1
	s_mov_b32 s19, 0
	s_waitcnt lgkmcnt(0)
	s_barrier
	buffer_gl0_inv
	s_branch .LBB36_21
.LBB36_19:                              ;   in Loop: Header=BB36_21 Depth=3
	s_or_b32 exec_lo, exec_lo, s2
	v_mov_b32_e32 v3, v5
.LBB36_20:                              ;   in Loop: Header=BB36_21 Depth=3
	s_or_b32 exec_lo, exec_lo, s20
	v_cmp_lt_u32_e64 s2, s10, v3
	s_waitcnt lgkmcnt(0)
	s_barrier
	buffer_gl0_inv
	s_or_b32 s19, s2, s19
	s_andn2_b32 exec_lo, exec_lo, s19
	s_cbranch_execz .LBB36_26
.LBB36_21:                              ;   Parent Loop BB36_3 Depth=1
                                        ;     Parent Loop BB36_6 Depth=2
                                        ; =>    This Inner Loop Header: Depth=3
	v_lshlrev_b32_e32 v5, 1, v3
	s_and_saveexec_b32 s2, s1
	s_xor_b32 s2, exec_lo, s2
; %bb.22:                               ;   in Loop: Header=BB36_21 Depth=3
	v_lshlrev_b32_e32 v3, 1, v3
                                        ; implicit-def: $vgpr5
; %bb.23:                               ;   in Loop: Header=BB36_21 Depth=3
	s_andn2_saveexec_b32 s20, s2
	s_cbranch_execz .LBB36_20
; %bb.24:                               ;   in Loop: Header=BB36_21 Depth=3
	v_ffbl_b32_e32 v6, v3
	v_add_nc_u32_e32 v22, -1, v3
	v_lshrrev_b32_e32 v6, v6, v0
	v_mad_u64_u32 v[6:7], null, v5, v6, v[3:4]
	v_and_b32_e32 v3, v22, v0
	v_add_nc_u32_e32 v3, v6, v3
	v_add_nc_u32_e32 v6, -1, v6
	v_lshl_add_u32 v7, v3, 1, v8
	v_lshl_add_u32 v22, v6, 1, v8
	ds_read_u16 v23, v7
	ds_read_u16 v22, v22
	s_waitcnt lgkmcnt(1)
	v_cmp_o_f16_e64 s2, v23, v23
	s_waitcnt lgkmcnt(0)
	v_cmp_nle_f16_e64 s3, v23, v22
	s_and_b32 s3, s2, s3
	s_and_saveexec_b32 s2, s3
	s_cbranch_execz .LBB36_19
; %bb.25:                               ;   in Loop: Header=BB36_21 Depth=3
	v_lshl_add_u32 v6, v6, 3, v9
	v_lshl_add_u32 v3, v3, 3, v9
	ds_read_b64 v[23:24], v6
	ds_write_b16 v7, v22
	s_waitcnt lgkmcnt(1)
	ds_write_b64 v3, v[23:24]
	s_branch .LBB36_19
.LBB36_26:                              ;   in Loop: Header=BB36_6 Depth=2
	s_or_b32 exec_lo, exec_lo, s19
	s_and_saveexec_b32 s3, vcc_lo
	s_cbranch_execz .LBB36_5
; %bb.27:                               ;   in Loop: Header=BB36_6 Depth=2
	s_mov_b32 s19, exec_lo
	v_cmpx_gt_i32_e64 s9, v4
	s_cbranch_execz .LBB36_29
; %bb.28:                               ;   in Loop: Header=BB36_6 Depth=2
	ds_read_u16 v24, v10
	ds_read_b64 v[6:7], v11
	v_ashrrev_i32_e32 v5, 31, v4
	v_lshlrev_b64 v[22:23], 1, v[4:5]
	v_lshlrev_b64 v[3:4], 3, v[4:5]
	v_add_co_u32 v22, s2, v18, v22
	v_add_co_ci_u32_e64 v23, null, v19, v23, s2
	v_add_co_u32 v3, s2, v20, v3
	v_add_co_ci_u32_e64 v4, null, v21, v4, s2
	s_waitcnt lgkmcnt(1)
	global_store_short v[22:23], v24, off
	s_waitcnt lgkmcnt(0)
	global_store_dwordx2 v[3:4], v[6:7], off
.LBB36_29:                              ;   in Loop: Header=BB36_6 Depth=2
	s_or_b32 exec_lo, exec_lo, s19
	v_cmp_gt_i32_e64 s2, s9, v2
	s_and_b32 exec_lo, exec_lo, s2
	s_cbranch_execz .LBB36_5
; %bb.30:                               ;   in Loop: Header=BB36_6 Depth=2
	ds_read_u16 v22, v13
	ds_read_b64 v[4:5], v15
	v_ashrrev_i32_e32 v3, 31, v2
	v_lshlrev_b64 v[6:7], 1, v[2:3]
	v_lshlrev_b64 v[2:3], 3, v[2:3]
	v_add_co_u32 v6, s2, v18, v6
	v_add_co_ci_u32_e64 v7, null, v19, v7, s2
	v_add_co_u32 v2, s2, v20, v2
	v_add_co_ci_u32_e64 v3, null, v21, v3, s2
	s_waitcnt lgkmcnt(1)
	global_store_short v[6:7], v22, off
	s_waitcnt lgkmcnt(0)
	global_store_dwordx2 v[2:3], v[4:5], off
	s_branch .LBB36_5
.LBB36_31:
	s_endpgm
	.section	.rodata,"a",@progbits
	.p2align	6, 0x0
	.amdhsa_kernel _ZN2at6native45tensor_kernel_scan_innermost_dim_with_indicesIN3c104HalfESt10less_equalIS3_EEEvPKT_PS6_PliijjS6_T0_
		.amdhsa_group_segment_fixed_size 0
		.amdhsa_private_segment_fixed_size 0
		.amdhsa_kernarg_size 304
		.amdhsa_user_sgpr_count 6
		.amdhsa_user_sgpr_private_segment_buffer 1
		.amdhsa_user_sgpr_dispatch_ptr 0
		.amdhsa_user_sgpr_queue_ptr 0
		.amdhsa_user_sgpr_kernarg_segment_ptr 1
		.amdhsa_user_sgpr_dispatch_id 0
		.amdhsa_user_sgpr_flat_scratch_init 0
		.amdhsa_user_sgpr_private_segment_size 0
		.amdhsa_wavefront_size32 1
		.amdhsa_uses_dynamic_stack 0
		.amdhsa_system_sgpr_private_segment_wavefront_offset 0
		.amdhsa_system_sgpr_workgroup_id_x 1
		.amdhsa_system_sgpr_workgroup_id_y 0
		.amdhsa_system_sgpr_workgroup_id_z 0
		.amdhsa_system_sgpr_workgroup_info 0
		.amdhsa_system_vgpr_workitem_id 1
		.amdhsa_next_free_vgpr 25
		.amdhsa_next_free_sgpr 21
		.amdhsa_reserve_vcc 1
		.amdhsa_reserve_flat_scratch 0
		.amdhsa_float_round_mode_32 0
		.amdhsa_float_round_mode_16_64 0
		.amdhsa_float_denorm_mode_32 3
		.amdhsa_float_denorm_mode_16_64 3
		.amdhsa_dx10_clamp 1
		.amdhsa_ieee_mode 1
		.amdhsa_fp16_overflow 0
		.amdhsa_workgroup_processor_mode 1
		.amdhsa_memory_ordered 1
		.amdhsa_forward_progress 1
		.amdhsa_shared_vgpr_count 0
		.amdhsa_exception_fp_ieee_invalid_op 0
		.amdhsa_exception_fp_denorm_src 0
		.amdhsa_exception_fp_ieee_div_zero 0
		.amdhsa_exception_fp_ieee_overflow 0
		.amdhsa_exception_fp_ieee_underflow 0
		.amdhsa_exception_fp_ieee_inexact 0
		.amdhsa_exception_int_div_zero 0
	.end_amdhsa_kernel
	.section	.text._ZN2at6native45tensor_kernel_scan_innermost_dim_with_indicesIN3c104HalfESt10less_equalIS3_EEEvPKT_PS6_PliijjS6_T0_,"axG",@progbits,_ZN2at6native45tensor_kernel_scan_innermost_dim_with_indicesIN3c104HalfESt10less_equalIS3_EEEvPKT_PS6_PliijjS6_T0_,comdat
.Lfunc_end36:
	.size	_ZN2at6native45tensor_kernel_scan_innermost_dim_with_indicesIN3c104HalfESt10less_equalIS3_EEEvPKT_PS6_PliijjS6_T0_, .Lfunc_end36-_ZN2at6native45tensor_kernel_scan_innermost_dim_with_indicesIN3c104HalfESt10less_equalIS3_EEEvPKT_PS6_PliijjS6_T0_
                                        ; -- End function
	.set _ZN2at6native45tensor_kernel_scan_innermost_dim_with_indicesIN3c104HalfESt10less_equalIS3_EEEvPKT_PS6_PliijjS6_T0_.num_vgpr, 25
	.set _ZN2at6native45tensor_kernel_scan_innermost_dim_with_indicesIN3c104HalfESt10less_equalIS3_EEEvPKT_PS6_PliijjS6_T0_.num_agpr, 0
	.set _ZN2at6native45tensor_kernel_scan_innermost_dim_with_indicesIN3c104HalfESt10less_equalIS3_EEEvPKT_PS6_PliijjS6_T0_.numbered_sgpr, 21
	.set _ZN2at6native45tensor_kernel_scan_innermost_dim_with_indicesIN3c104HalfESt10less_equalIS3_EEEvPKT_PS6_PliijjS6_T0_.num_named_barrier, 0
	.set _ZN2at6native45tensor_kernel_scan_innermost_dim_with_indicesIN3c104HalfESt10less_equalIS3_EEEvPKT_PS6_PliijjS6_T0_.private_seg_size, 0
	.set _ZN2at6native45tensor_kernel_scan_innermost_dim_with_indicesIN3c104HalfESt10less_equalIS3_EEEvPKT_PS6_PliijjS6_T0_.uses_vcc, 1
	.set _ZN2at6native45tensor_kernel_scan_innermost_dim_with_indicesIN3c104HalfESt10less_equalIS3_EEEvPKT_PS6_PliijjS6_T0_.uses_flat_scratch, 0
	.set _ZN2at6native45tensor_kernel_scan_innermost_dim_with_indicesIN3c104HalfESt10less_equalIS3_EEEvPKT_PS6_PliijjS6_T0_.has_dyn_sized_stack, 0
	.set _ZN2at6native45tensor_kernel_scan_innermost_dim_with_indicesIN3c104HalfESt10less_equalIS3_EEEvPKT_PS6_PliijjS6_T0_.has_recursion, 0
	.set _ZN2at6native45tensor_kernel_scan_innermost_dim_with_indicesIN3c104HalfESt10less_equalIS3_EEEvPKT_PS6_PliijjS6_T0_.has_indirect_call, 0
	.section	.AMDGPU.csdata,"",@progbits
; Kernel info:
; codeLenInByte = 1180
; TotalNumSgprs: 23
; NumVgprs: 25
; ScratchSize: 0
; MemoryBound: 0
; FloatMode: 240
; IeeeMode: 1
; LDSByteSize: 0 bytes/workgroup (compile time only)
; SGPRBlocks: 0
; VGPRBlocks: 3
; NumSGPRsForWavesPerEU: 23
; NumVGPRsForWavesPerEU: 25
; Occupancy: 16
; WaveLimiterHint : 0
; COMPUTE_PGM_RSRC2:SCRATCH_EN: 0
; COMPUTE_PGM_RSRC2:USER_SGPR: 6
; COMPUTE_PGM_RSRC2:TRAP_HANDLER: 0
; COMPUTE_PGM_RSRC2:TGID_X_EN: 1
; COMPUTE_PGM_RSRC2:TGID_Y_EN: 0
; COMPUTE_PGM_RSRC2:TGID_Z_EN: 0
; COMPUTE_PGM_RSRC2:TIDIG_COMP_CNT: 1
	.section	.text._ZN2at6native41tensor_kernel_scan_outer_dim_with_indicesIN3c104HalfESt10less_equalIS3_EEEvPKT_PS6_PljjjS6_T0_,"axG",@progbits,_ZN2at6native41tensor_kernel_scan_outer_dim_with_indicesIN3c104HalfESt10less_equalIS3_EEEvPKT_PS6_PljjjS6_T0_,comdat
	.protected	_ZN2at6native41tensor_kernel_scan_outer_dim_with_indicesIN3c104HalfESt10less_equalIS3_EEEvPKT_PS6_PljjjS6_T0_ ; -- Begin function _ZN2at6native41tensor_kernel_scan_outer_dim_with_indicesIN3c104HalfESt10less_equalIS3_EEEvPKT_PS6_PljjjS6_T0_
	.globl	_ZN2at6native41tensor_kernel_scan_outer_dim_with_indicesIN3c104HalfESt10less_equalIS3_EEEvPKT_PS6_PljjjS6_T0_
	.p2align	8
	.type	_ZN2at6native41tensor_kernel_scan_outer_dim_with_indicesIN3c104HalfESt10less_equalIS3_EEEvPKT_PS6_PljjjS6_T0_,@function
_ZN2at6native41tensor_kernel_scan_outer_dim_with_indicesIN3c104HalfESt10less_equalIS3_EEEvPKT_PS6_PljjjS6_T0_: ; @_ZN2at6native41tensor_kernel_scan_outer_dim_with_indicesIN3c104HalfESt10less_equalIS3_EEEvPKT_PS6_PljjjS6_T0_
; %bb.0:
	s_load_dwordx4 s[8:11], s[4:5], 0x18
	s_waitcnt lgkmcnt(0)
	s_cmp_ge_u32 s6, s8
	s_cbranch_scc1 .LBB37_9
; %bb.1:
	s_clause 0x3
	s_load_dword s0, s[4:5], 0x34
	s_load_dword s26, s[4:5], 0x28
	s_load_dwordx4 s[12:15], s[4:5], 0x0
	s_load_dwordx2 s[2:3], s[4:5], 0x10
	s_add_u32 s4, s4, 40
	s_addc_u32 s5, s5, 0
	s_mul_i32 s1, s6, s10
	v_mov_b32_e32 v2, 0
	s_mov_b32 s17, 0
	s_mov_b32 s16, s9
	s_mul_i32 s1, s1, s9
	s_waitcnt lgkmcnt(0)
	s_and_b32 s27, s0, 0xffff
	s_cmp_lg_u32 s10, 0
	v_mad_u64_u32 v[0:1], null, s7, s27, v[0:1]
	s_mul_i32 s7, s26, s10
	s_cselect_b32 s28, -1, 0
	s_mul_i32 s7, s7, s9
	s_lshl_b64 s[18:19], s[16:17], 3
	s_lshl_b64 s[20:21], s[16:17], 1
	s_mov_b32 s16, s1
	v_cmp_gt_u32_e64 s0, s9, v0
	s_branch .LBB37_3
.LBB37_2:                               ;   in Loop: Header=BB37_3 Depth=1
	s_or_b32 exec_lo, exec_lo, s29
	s_add_i32 s6, s26, s6
	s_add_i32 s16, s16, s7
	s_cmp_ge_u32 s6, s8
	s_cbranch_scc1 .LBB37_9
.LBB37_3:                               ; =>This Loop Header: Depth=1
                                        ;     Child Loop BB37_6 Depth 2
                                        ;       Child Loop BB37_8 Depth 3
	s_and_saveexec_b32 s29, s0
	s_cbranch_execz .LBB37_2
; %bb.4:                                ;   in Loop: Header=BB37_3 Depth=1
	s_load_dword s33, s[4:5], 0x4
	s_lshl_b64 s[24:25], s[16:17], 3
	v_mov_b32_e32 v1, v0
	s_lshl_b64 s[22:23], s[16:17], 1
	s_add_u32 s30, s2, s24
	s_addc_u32 s31, s3, s25
	s_mov_b32 s34, 0
	s_waitcnt lgkmcnt(0)
	s_mul_i32 s33, s33, s27
	s_branch .LBB37_6
.LBB37_5:                               ;   in Loop: Header=BB37_6 Depth=2
	s_inst_prefetch 0x2
	v_add_nc_u32_e32 v1, s33, v1
	v_cmp_le_u32_e32 vcc_lo, s9, v1
	s_or_b32 s34, vcc_lo, s34
	s_andn2_b32 exec_lo, exec_lo, s34
	s_cbranch_execz .LBB37_2
.LBB37_6:                               ;   Parent Loop BB37_3 Depth=1
                                        ; =>  This Loop Header: Depth=2
                                        ;       Child Loop BB37_8 Depth 3
	s_andn2_b32 vcc_lo, exec_lo, s28
	s_cbranch_vccnz .LBB37_5
; %bb.7:                                ;   in Loop: Header=BB37_6 Depth=2
	v_lshlrev_b64 v[3:4], 3, v[1:2]
	v_lshlrev_b64 v[5:6], 1, v[1:2]
	v_mov_b32_e32 v9, s11
	s_mov_b64 s[24:25], 0
	v_add_co_u32 v3, vcc_lo, s30, v3
	v_add_co_ci_u32_e64 v4, null, s31, v4, vcc_lo
	v_add_co_u32 v7, vcc_lo, s22, v5
	v_add_co_ci_u32_e64 v8, null, s23, v6, vcc_lo
	v_mov_b32_e32 v5, 0
	v_mov_b32_e32 v6, 0
	s_inst_prefetch 0x1
	.p2align	6
.LBB37_8:                               ;   Parent Loop BB37_3 Depth=1
                                        ;     Parent Loop BB37_6 Depth=2
                                        ; =>    This Inner Loop Header: Depth=3
	v_add_co_u32 v10, vcc_lo, s12, v7
	v_add_co_ci_u32_e64 v11, null, s13, v8, vcc_lo
	global_load_ushort v12, v[10:11], off
	v_add_co_u32 v10, vcc_lo, s14, v7
	v_add_co_ci_u32_e64 v11, null, s15, v8, vcc_lo
	v_add_co_u32 v7, vcc_lo, v7, s20
	v_add_co_ci_u32_e64 v8, null, s21, v8, vcc_lo
	s_waitcnt vmcnt(0)
	v_cmp_o_f16_e32 vcc_lo, v12, v12
	v_cmp_nle_f16_e64 s1, v12, v9
	s_and_b32 vcc_lo, vcc_lo, s1
	v_cndmask_b32_e32 v6, s25, v6, vcc_lo
	v_cndmask_b32_e32 v5, s24, v5, vcc_lo
	;; [unrolled: 1-line block ×3, first 2 shown]
	s_add_u32 s24, s24, 1
	s_addc_u32 s25, s25, 0
	s_cmp_eq_u32 s10, s24
	global_store_dwordx2 v[3:4], v[5:6], off
	v_add_co_u32 v3, vcc_lo, v3, s18
	v_add_co_ci_u32_e64 v4, null, s19, v4, vcc_lo
	global_store_short v[10:11], v9, off
	s_cbranch_scc0 .LBB37_8
	s_branch .LBB37_5
.LBB37_9:
	s_endpgm
	.section	.rodata,"a",@progbits
	.p2align	6, 0x0
	.amdhsa_kernel _ZN2at6native41tensor_kernel_scan_outer_dim_with_indicesIN3c104HalfESt10less_equalIS3_EEEvPKT_PS6_PljjjS6_T0_
		.amdhsa_group_segment_fixed_size 0
		.amdhsa_private_segment_fixed_size 0
		.amdhsa_kernarg_size 296
		.amdhsa_user_sgpr_count 6
		.amdhsa_user_sgpr_private_segment_buffer 1
		.amdhsa_user_sgpr_dispatch_ptr 0
		.amdhsa_user_sgpr_queue_ptr 0
		.amdhsa_user_sgpr_kernarg_segment_ptr 1
		.amdhsa_user_sgpr_dispatch_id 0
		.amdhsa_user_sgpr_flat_scratch_init 0
		.amdhsa_user_sgpr_private_segment_size 0
		.amdhsa_wavefront_size32 1
		.amdhsa_uses_dynamic_stack 0
		.amdhsa_system_sgpr_private_segment_wavefront_offset 0
		.amdhsa_system_sgpr_workgroup_id_x 1
		.amdhsa_system_sgpr_workgroup_id_y 1
		.amdhsa_system_sgpr_workgroup_id_z 0
		.amdhsa_system_sgpr_workgroup_info 0
		.amdhsa_system_vgpr_workitem_id 0
		.amdhsa_next_free_vgpr 13
		.amdhsa_next_free_sgpr 35
		.amdhsa_reserve_vcc 1
		.amdhsa_reserve_flat_scratch 0
		.amdhsa_float_round_mode_32 0
		.amdhsa_float_round_mode_16_64 0
		.amdhsa_float_denorm_mode_32 3
		.amdhsa_float_denorm_mode_16_64 3
		.amdhsa_dx10_clamp 1
		.amdhsa_ieee_mode 1
		.amdhsa_fp16_overflow 0
		.amdhsa_workgroup_processor_mode 1
		.amdhsa_memory_ordered 1
		.amdhsa_forward_progress 1
		.amdhsa_shared_vgpr_count 0
		.amdhsa_exception_fp_ieee_invalid_op 0
		.amdhsa_exception_fp_denorm_src 0
		.amdhsa_exception_fp_ieee_div_zero 0
		.amdhsa_exception_fp_ieee_overflow 0
		.amdhsa_exception_fp_ieee_underflow 0
		.amdhsa_exception_fp_ieee_inexact 0
		.amdhsa_exception_int_div_zero 0
	.end_amdhsa_kernel
	.section	.text._ZN2at6native41tensor_kernel_scan_outer_dim_with_indicesIN3c104HalfESt10less_equalIS3_EEEvPKT_PS6_PljjjS6_T0_,"axG",@progbits,_ZN2at6native41tensor_kernel_scan_outer_dim_with_indicesIN3c104HalfESt10less_equalIS3_EEEvPKT_PS6_PljjjS6_T0_,comdat
.Lfunc_end37:
	.size	_ZN2at6native41tensor_kernel_scan_outer_dim_with_indicesIN3c104HalfESt10less_equalIS3_EEEvPKT_PS6_PljjjS6_T0_, .Lfunc_end37-_ZN2at6native41tensor_kernel_scan_outer_dim_with_indicesIN3c104HalfESt10less_equalIS3_EEEvPKT_PS6_PljjjS6_T0_
                                        ; -- End function
	.set _ZN2at6native41tensor_kernel_scan_outer_dim_with_indicesIN3c104HalfESt10less_equalIS3_EEEvPKT_PS6_PljjjS6_T0_.num_vgpr, 13
	.set _ZN2at6native41tensor_kernel_scan_outer_dim_with_indicesIN3c104HalfESt10less_equalIS3_EEEvPKT_PS6_PljjjS6_T0_.num_agpr, 0
	.set _ZN2at6native41tensor_kernel_scan_outer_dim_with_indicesIN3c104HalfESt10less_equalIS3_EEEvPKT_PS6_PljjjS6_T0_.numbered_sgpr, 35
	.set _ZN2at6native41tensor_kernel_scan_outer_dim_with_indicesIN3c104HalfESt10less_equalIS3_EEEvPKT_PS6_PljjjS6_T0_.num_named_barrier, 0
	.set _ZN2at6native41tensor_kernel_scan_outer_dim_with_indicesIN3c104HalfESt10less_equalIS3_EEEvPKT_PS6_PljjjS6_T0_.private_seg_size, 0
	.set _ZN2at6native41tensor_kernel_scan_outer_dim_with_indicesIN3c104HalfESt10less_equalIS3_EEEvPKT_PS6_PljjjS6_T0_.uses_vcc, 1
	.set _ZN2at6native41tensor_kernel_scan_outer_dim_with_indicesIN3c104HalfESt10less_equalIS3_EEEvPKT_PS6_PljjjS6_T0_.uses_flat_scratch, 0
	.set _ZN2at6native41tensor_kernel_scan_outer_dim_with_indicesIN3c104HalfESt10less_equalIS3_EEEvPKT_PS6_PljjjS6_T0_.has_dyn_sized_stack, 0
	.set _ZN2at6native41tensor_kernel_scan_outer_dim_with_indicesIN3c104HalfESt10less_equalIS3_EEEvPKT_PS6_PljjjS6_T0_.has_recursion, 0
	.set _ZN2at6native41tensor_kernel_scan_outer_dim_with_indicesIN3c104HalfESt10less_equalIS3_EEEvPKT_PS6_PljjjS6_T0_.has_indirect_call, 0
	.section	.AMDGPU.csdata,"",@progbits
; Kernel info:
; codeLenInByte = 464
; TotalNumSgprs: 37
; NumVgprs: 13
; ScratchSize: 0
; MemoryBound: 0
; FloatMode: 240
; IeeeMode: 1
; LDSByteSize: 0 bytes/workgroup (compile time only)
; SGPRBlocks: 0
; VGPRBlocks: 1
; NumSGPRsForWavesPerEU: 37
; NumVGPRsForWavesPerEU: 13
; Occupancy: 16
; WaveLimiterHint : 0
; COMPUTE_PGM_RSRC2:SCRATCH_EN: 0
; COMPUTE_PGM_RSRC2:USER_SGPR: 6
; COMPUTE_PGM_RSRC2:TRAP_HANDLER: 0
; COMPUTE_PGM_RSRC2:TGID_X_EN: 1
; COMPUTE_PGM_RSRC2:TGID_Y_EN: 1
; COMPUTE_PGM_RSRC2:TGID_Z_EN: 0
; COMPUTE_PGM_RSRC2:TIDIG_COMP_CNT: 0
	.section	.text._ZN2at6native45tensor_kernel_scan_innermost_dim_with_indicesIN3c108BFloat16ESt10less_equalIS3_EEEvPKT_PS6_PliijjS6_T0_,"axG",@progbits,_ZN2at6native45tensor_kernel_scan_innermost_dim_with_indicesIN3c108BFloat16ESt10less_equalIS3_EEEvPKT_PS6_PliijjS6_T0_,comdat
	.protected	_ZN2at6native45tensor_kernel_scan_innermost_dim_with_indicesIN3c108BFloat16ESt10less_equalIS3_EEEvPKT_PS6_PliijjS6_T0_ ; -- Begin function _ZN2at6native45tensor_kernel_scan_innermost_dim_with_indicesIN3c108BFloat16ESt10less_equalIS3_EEEvPKT_PS6_PliijjS6_T0_
	.globl	_ZN2at6native45tensor_kernel_scan_innermost_dim_with_indicesIN3c108BFloat16ESt10less_equalIS3_EEEvPKT_PS6_PliijjS6_T0_
	.p2align	8
	.type	_ZN2at6native45tensor_kernel_scan_innermost_dim_with_indicesIN3c108BFloat16ESt10less_equalIS3_EEEvPKT_PS6_PliijjS6_T0_,@function
_ZN2at6native45tensor_kernel_scan_innermost_dim_with_indicesIN3c108BFloat16ESt10less_equalIS3_EEEvPKT_PS6_PliijjS6_T0_: ; @_ZN2at6native45tensor_kernel_scan_innermost_dim_with_indicesIN3c108BFloat16ESt10less_equalIS3_EEEvPKT_PS6_PliijjS6_T0_
; %bb.0:
	s_clause 0x1
	s_load_dword s2, s[4:5], 0x3c
	s_load_dwordx4 s[8:11], s[4:5], 0x18
	s_add_u32 s0, s4, 48
	s_addc_u32 s1, s5, 0
	s_waitcnt lgkmcnt(0)
	s_lshr_b32 s2, s2, 16
	s_mul_i32 s3, s6, s2
	s_cmp_ge_i32 s3, s8
	s_cbranch_scc1 .LBB38_33
; %bb.1:
	s_lshl_b32 s6, 2, s11
	s_clause 0x2
	s_load_dword s7, s[4:5], 0x28
	s_load_dwordx4 s[12:15], s[4:5], 0x0
	s_load_dwordx2 s[4:5], s[4:5], 0x10
	s_load_dword s16, s[0:1], 0x0
	v_mul_lo_u32 v2, s6, v1
	s_lshl_b32 s0, s10, 2
	s_lshl_b32 s10, 1, s11
	s_cmp_gt_i32 s9, 0
	s_cselect_b32 s11, -1, 0
	s_add_i32 s1, s6, -1
	v_lshlrev_b32_e32 v3, 3, v2
	v_lshl_add_u32 v8, v2, 1, 0
	v_add3_u32 v9, 0, s0, v3
	v_lshl_add_u32 v10, v0, 1, v8
	v_cmp_eq_u32_e64 s0, 0, v0
	v_lshl_add_u32 v12, s1, 1, v8
	v_lshl_add_u32 v11, v0, 3, v9
	;; [unrolled: 1-line block ×4, first 2 shown]
	s_waitcnt lgkmcnt(0)
	s_mul_i32 s16, s16, s2
	v_lshl_add_u32 v15, s10, 3, v11
	s_branch .LBB38_3
.LBB38_2:                               ;   in Loop: Header=BB38_3 Depth=1
	s_add_i32 s3, s16, s3
	s_cmp_ge_i32 s3, s8
	s_cbranch_scc1 .LBB38_33
.LBB38_3:                               ; =>This Loop Header: Depth=1
                                        ;     Child Loop BB38_6 Depth 2
                                        ;       Child Loop BB38_22 Depth 3
	s_andn2_b32 vcc_lo, exec_lo, s11
	s_cbranch_vccnz .LBB38_2
; %bb.4:                                ;   in Loop: Header=BB38_3 Depth=1
	v_add_nc_u32_e32 v16, s3, v1
	v_mov_b32_e32 v6, 0
	v_mov_b32_e32 v7, 0
	;; [unrolled: 1-line block ×3, first 2 shown]
	s_mov_b32 s17, 0
	v_mul_lo_u32 v2, v16, s9
	v_cmp_gt_i32_e32 vcc_lo, s8, v16
	v_cmp_le_i32_e64 s1, s8, v16
	v_ashrrev_i32_e32 v3, 31, v2
	v_lshlrev_b64 v[4:5], 1, v[2:3]
	v_lshlrev_b64 v[2:3], 3, v[2:3]
	v_add_co_u32 v16, s2, s12, v4
	v_add_co_ci_u32_e64 v17, null, s13, v5, s2
	v_add_co_u32 v18, s2, s14, v4
	v_add_co_ci_u32_e64 v19, null, s15, v5, s2
	;; [unrolled: 2-line block ×3, first 2 shown]
	s_branch .LBB38_6
.LBB38_5:                               ;   in Loop: Header=BB38_6 Depth=2
	s_or_b32 exec_lo, exec_lo, s18
	ds_read_u16 v22, v12
	ds_read_b64 v[6:7], v14
	s_add_i32 s17, s17, s6
	s_waitcnt lgkmcnt(0)
	s_waitcnt_vscnt null, 0x0
	s_cmp_ge_i32 s17, s9
	s_barrier
	buffer_gl0_inv
	s_cbranch_scc1 .LBB38_2
.LBB38_6:                               ;   Parent Loop BB38_3 Depth=1
                                        ; =>  This Loop Header: Depth=2
                                        ;       Child Loop BB38_22 Depth 3
	v_add_nc_u32_e32 v4, s17, v0
	v_add_nc_u32_e32 v2, s10, v4
	s_and_saveexec_b32 s18, vcc_lo
	s_cbranch_execz .LBB38_19
; %bb.7:                                ;   in Loop: Header=BB38_6 Depth=2
	v_cmp_le_i32_e64 s2, s9, v4
	s_and_saveexec_b32 s19, s2
	s_xor_b32 s2, exec_lo, s19
; %bb.8:                                ;   in Loop: Header=BB38_6 Depth=2
	v_mov_b32_e32 v3, s7
	ds_write_b16 v10, v3
; %bb.9:                                ;   in Loop: Header=BB38_6 Depth=2
	s_andn2_saveexec_b32 s19, s2
	s_cbranch_execz .LBB38_11
; %bb.10:                               ;   in Loop: Header=BB38_6 Depth=2
	v_ashrrev_i32_e32 v5, 31, v4
	v_lshlrev_b64 v[23:24], 1, v[4:5]
	v_add_co_u32 v23, s2, v16, v23
	v_add_co_ci_u32_e64 v24, null, v17, v24, s2
	global_load_ushort v3, v[23:24], off
	s_waitcnt vmcnt(0)
	ds_write_b16 v10, v3
	ds_write_b64 v11, v[4:5]
.LBB38_11:                              ;   in Loop: Header=BB38_6 Depth=2
	s_or_b32 exec_lo, exec_lo, s19
	v_cmp_le_i32_e64 s2, s9, v2
	s_and_saveexec_b32 s19, s2
	s_xor_b32 s2, exec_lo, s19
	s_cbranch_execnz .LBB38_14
; %bb.12:                               ;   in Loop: Header=BB38_6 Depth=2
	s_andn2_saveexec_b32 s19, s2
	s_cbranch_execnz .LBB38_15
.LBB38_13:                              ;   in Loop: Header=BB38_6 Depth=2
	s_or_b32 exec_lo, exec_lo, s19
	s_and_b32 exec_lo, exec_lo, s0
	s_cbranch_execnz .LBB38_16
	s_branch .LBB38_19
.LBB38_14:                              ;   in Loop: Header=BB38_6 Depth=2
	v_mov_b32_e32 v3, s7
	ds_write_b16 v13, v3
	s_andn2_saveexec_b32 s19, s2
	s_cbranch_execz .LBB38_13
.LBB38_15:                              ;   in Loop: Header=BB38_6 Depth=2
	v_ashrrev_i32_e32 v3, 31, v2
	v_lshlrev_b64 v[23:24], 1, v[2:3]
	v_add_co_u32 v23, s2, v16, v23
	v_add_co_ci_u32_e64 v24, null, v17, v24, s2
	global_load_ushort v5, v[23:24], off
	s_waitcnt vmcnt(0)
	ds_write_b16 v13, v5
	ds_write_b64 v15, v[2:3]
	s_or_b32 exec_lo, exec_lo, s19
	s_and_b32 exec_lo, exec_lo, s0
	s_cbranch_execz .LBB38_19
.LBB38_16:                              ;   in Loop: Header=BB38_6 Depth=2
	ds_read_u16 v3, v8
	s_waitcnt lgkmcnt(0)
	v_lshlrev_b32_e32 v3, 16, v3
	v_cmp_o_f32_e64 s2, v3, v3
	s_and_b32 exec_lo, exec_lo, s2
	s_cbranch_execz .LBB38_19
; %bb.17:                               ;   in Loop: Header=BB38_6 Depth=2
	v_lshlrev_b32_e32 v5, 16, v22
	v_cmp_nle_f32_e64 s2, v3, v5
	s_and_b32 exec_lo, exec_lo, s2
	s_cbranch_execz .LBB38_19
; %bb.18:                               ;   in Loop: Header=BB38_6 Depth=2
	ds_write_b16 v8, v22
	ds_write_b64 v9, v[6:7]
.LBB38_19:                              ;   in Loop: Header=BB38_6 Depth=2
	s_or_b32 exec_lo, exec_lo, s18
	v_mov_b32_e32 v3, 1
	s_mov_b32 s18, 0
	s_waitcnt lgkmcnt(0)
	s_barrier
	buffer_gl0_inv
	s_branch .LBB38_22
.LBB38_20:                              ;   in Loop: Header=BB38_22 Depth=3
	s_or_b32 exec_lo, exec_lo, s20
	v_mov_b32_e32 v3, v7
.LBB38_21:                              ;   in Loop: Header=BB38_22 Depth=3
	s_or_b32 exec_lo, exec_lo, s19
	v_cmp_lt_u32_e64 s2, s10, v3
	s_waitcnt lgkmcnt(0)
	s_barrier
	buffer_gl0_inv
	s_or_b32 s18, s2, s18
	s_andn2_b32 exec_lo, exec_lo, s18
	s_cbranch_execz .LBB38_28
.LBB38_22:                              ;   Parent Loop BB38_3 Depth=1
                                        ;     Parent Loop BB38_6 Depth=2
                                        ; =>    This Inner Loop Header: Depth=3
	v_lshlrev_b32_e32 v7, 1, v3
	s_and_saveexec_b32 s2, s1
	s_xor_b32 s2, exec_lo, s2
; %bb.23:                               ;   in Loop: Header=BB38_22 Depth=3
	v_lshlrev_b32_e32 v3, 1, v3
                                        ; implicit-def: $vgpr7
; %bb.24:                               ;   in Loop: Header=BB38_22 Depth=3
	s_andn2_saveexec_b32 s19, s2
	s_cbranch_execz .LBB38_21
; %bb.25:                               ;   in Loop: Header=BB38_22 Depth=3
	v_ffbl_b32_e32 v5, v3
	v_add_nc_u32_e32 v22, -1, v3
	s_mov_b32 s20, exec_lo
	v_lshrrev_b32_e32 v5, v5, v0
	v_mad_u64_u32 v[5:6], null, v7, v5, v[3:4]
	v_and_b32_e32 v3, v22, v0
	v_add_nc_u32_e32 v3, v5, v3
	v_lshl_add_u32 v6, v3, 1, v8
	ds_read_u16 v22, v6
	s_waitcnt lgkmcnt(0)
	v_lshlrev_b32_e32 v22, 16, v22
	v_cmpx_o_f32_e32 v22, v22
	s_cbranch_execz .LBB38_20
; %bb.26:                               ;   in Loop: Header=BB38_22 Depth=3
	v_add_nc_u32_e32 v23, -1, v5
	v_lshl_add_u32 v5, v23, 1, v8
	ds_read_u16 v5, v5
	s_waitcnt lgkmcnt(0)
	v_lshlrev_b32_e32 v24, 16, v5
	v_cmp_nle_f32_e64 s2, v22, v24
	s_and_b32 exec_lo, exec_lo, s2
	s_cbranch_execz .LBB38_20
; %bb.27:                               ;   in Loop: Header=BB38_22 Depth=3
	v_lshl_add_u32 v22, v23, 3, v9
	v_lshl_add_u32 v3, v3, 3, v9
	ds_read_b64 v[22:23], v22
	ds_write_b16 v6, v5
	s_waitcnt lgkmcnt(1)
	ds_write_b64 v3, v[22:23]
	s_branch .LBB38_20
.LBB38_28:                              ;   in Loop: Header=BB38_6 Depth=2
	s_or_b32 exec_lo, exec_lo, s18
	s_and_saveexec_b32 s18, vcc_lo
	s_cbranch_execz .LBB38_5
; %bb.29:                               ;   in Loop: Header=BB38_6 Depth=2
	s_mov_b32 s19, exec_lo
	v_cmpx_gt_i32_e64 s9, v4
	s_cbranch_execz .LBB38_31
; %bb.30:                               ;   in Loop: Header=BB38_6 Depth=2
	ds_read_u16 v24, v10
	ds_read_b64 v[6:7], v11
	v_ashrrev_i32_e32 v5, 31, v4
	v_lshlrev_b64 v[22:23], 1, v[4:5]
	v_lshlrev_b64 v[3:4], 3, v[4:5]
	v_add_co_u32 v22, s2, v18, v22
	v_add_co_ci_u32_e64 v23, null, v19, v23, s2
	v_add_co_u32 v3, s2, v20, v3
	v_add_co_ci_u32_e64 v4, null, v21, v4, s2
	s_waitcnt lgkmcnt(1)
	global_store_short v[22:23], v24, off
	s_waitcnt lgkmcnt(0)
	global_store_dwordx2 v[3:4], v[6:7], off
.LBB38_31:                              ;   in Loop: Header=BB38_6 Depth=2
	s_or_b32 exec_lo, exec_lo, s19
	v_cmp_gt_i32_e64 s2, s9, v2
	s_and_b32 exec_lo, exec_lo, s2
	s_cbranch_execz .LBB38_5
; %bb.32:                               ;   in Loop: Header=BB38_6 Depth=2
	ds_read_u16 v22, v13
	ds_read_b64 v[4:5], v15
	v_ashrrev_i32_e32 v3, 31, v2
	v_lshlrev_b64 v[6:7], 1, v[2:3]
	v_lshlrev_b64 v[2:3], 3, v[2:3]
	v_add_co_u32 v6, s2, v18, v6
	v_add_co_ci_u32_e64 v7, null, v19, v7, s2
	v_add_co_u32 v2, s2, v20, v2
	v_add_co_ci_u32_e64 v3, null, v21, v3, s2
	s_waitcnt lgkmcnt(1)
	global_store_short v[6:7], v22, off
	s_waitcnt lgkmcnt(0)
	global_store_dwordx2 v[2:3], v[4:5], off
	s_branch .LBB38_5
.LBB38_33:
	s_endpgm
	.section	.rodata,"a",@progbits
	.p2align	6, 0x0
	.amdhsa_kernel _ZN2at6native45tensor_kernel_scan_innermost_dim_with_indicesIN3c108BFloat16ESt10less_equalIS3_EEEvPKT_PS6_PliijjS6_T0_
		.amdhsa_group_segment_fixed_size 0
		.amdhsa_private_segment_fixed_size 0
		.amdhsa_kernarg_size 304
		.amdhsa_user_sgpr_count 6
		.amdhsa_user_sgpr_private_segment_buffer 1
		.amdhsa_user_sgpr_dispatch_ptr 0
		.amdhsa_user_sgpr_queue_ptr 0
		.amdhsa_user_sgpr_kernarg_segment_ptr 1
		.amdhsa_user_sgpr_dispatch_id 0
		.amdhsa_user_sgpr_flat_scratch_init 0
		.amdhsa_user_sgpr_private_segment_size 0
		.amdhsa_wavefront_size32 1
		.amdhsa_uses_dynamic_stack 0
		.amdhsa_system_sgpr_private_segment_wavefront_offset 0
		.amdhsa_system_sgpr_workgroup_id_x 1
		.amdhsa_system_sgpr_workgroup_id_y 0
		.amdhsa_system_sgpr_workgroup_id_z 0
		.amdhsa_system_sgpr_workgroup_info 0
		.amdhsa_system_vgpr_workitem_id 1
		.amdhsa_next_free_vgpr 25
		.amdhsa_next_free_sgpr 21
		.amdhsa_reserve_vcc 1
		.amdhsa_reserve_flat_scratch 0
		.amdhsa_float_round_mode_32 0
		.amdhsa_float_round_mode_16_64 0
		.amdhsa_float_denorm_mode_32 3
		.amdhsa_float_denorm_mode_16_64 3
		.amdhsa_dx10_clamp 1
		.amdhsa_ieee_mode 1
		.amdhsa_fp16_overflow 0
		.amdhsa_workgroup_processor_mode 1
		.amdhsa_memory_ordered 1
		.amdhsa_forward_progress 1
		.amdhsa_shared_vgpr_count 0
		.amdhsa_exception_fp_ieee_invalid_op 0
		.amdhsa_exception_fp_denorm_src 0
		.amdhsa_exception_fp_ieee_div_zero 0
		.amdhsa_exception_fp_ieee_overflow 0
		.amdhsa_exception_fp_ieee_underflow 0
		.amdhsa_exception_fp_ieee_inexact 0
		.amdhsa_exception_int_div_zero 0
	.end_amdhsa_kernel
	.section	.text._ZN2at6native45tensor_kernel_scan_innermost_dim_with_indicesIN3c108BFloat16ESt10less_equalIS3_EEEvPKT_PS6_PliijjS6_T0_,"axG",@progbits,_ZN2at6native45tensor_kernel_scan_innermost_dim_with_indicesIN3c108BFloat16ESt10less_equalIS3_EEEvPKT_PS6_PliijjS6_T0_,comdat
.Lfunc_end38:
	.size	_ZN2at6native45tensor_kernel_scan_innermost_dim_with_indicesIN3c108BFloat16ESt10less_equalIS3_EEEvPKT_PS6_PliijjS6_T0_, .Lfunc_end38-_ZN2at6native45tensor_kernel_scan_innermost_dim_with_indicesIN3c108BFloat16ESt10less_equalIS3_EEEvPKT_PS6_PliijjS6_T0_
                                        ; -- End function
	.set _ZN2at6native45tensor_kernel_scan_innermost_dim_with_indicesIN3c108BFloat16ESt10less_equalIS3_EEEvPKT_PS6_PliijjS6_T0_.num_vgpr, 25
	.set _ZN2at6native45tensor_kernel_scan_innermost_dim_with_indicesIN3c108BFloat16ESt10less_equalIS3_EEEvPKT_PS6_PliijjS6_T0_.num_agpr, 0
	.set _ZN2at6native45tensor_kernel_scan_innermost_dim_with_indicesIN3c108BFloat16ESt10less_equalIS3_EEEvPKT_PS6_PliijjS6_T0_.numbered_sgpr, 21
	.set _ZN2at6native45tensor_kernel_scan_innermost_dim_with_indicesIN3c108BFloat16ESt10less_equalIS3_EEEvPKT_PS6_PliijjS6_T0_.num_named_barrier, 0
	.set _ZN2at6native45tensor_kernel_scan_innermost_dim_with_indicesIN3c108BFloat16ESt10less_equalIS3_EEEvPKT_PS6_PliijjS6_T0_.private_seg_size, 0
	.set _ZN2at6native45tensor_kernel_scan_innermost_dim_with_indicesIN3c108BFloat16ESt10less_equalIS3_EEEvPKT_PS6_PliijjS6_T0_.uses_vcc, 1
	.set _ZN2at6native45tensor_kernel_scan_innermost_dim_with_indicesIN3c108BFloat16ESt10less_equalIS3_EEEvPKT_PS6_PliijjS6_T0_.uses_flat_scratch, 0
	.set _ZN2at6native45tensor_kernel_scan_innermost_dim_with_indicesIN3c108BFloat16ESt10less_equalIS3_EEEvPKT_PS6_PliijjS6_T0_.has_dyn_sized_stack, 0
	.set _ZN2at6native45tensor_kernel_scan_innermost_dim_with_indicesIN3c108BFloat16ESt10less_equalIS3_EEEvPKT_PS6_PliijjS6_T0_.has_recursion, 0
	.set _ZN2at6native45tensor_kernel_scan_innermost_dim_with_indicesIN3c108BFloat16ESt10less_equalIS3_EEEvPKT_PS6_PliijjS6_T0_.has_indirect_call, 0
	.section	.AMDGPU.csdata,"",@progbits
; Kernel info:
; codeLenInByte = 1200
; TotalNumSgprs: 23
; NumVgprs: 25
; ScratchSize: 0
; MemoryBound: 0
; FloatMode: 240
; IeeeMode: 1
; LDSByteSize: 0 bytes/workgroup (compile time only)
; SGPRBlocks: 0
; VGPRBlocks: 3
; NumSGPRsForWavesPerEU: 23
; NumVGPRsForWavesPerEU: 25
; Occupancy: 16
; WaveLimiterHint : 0
; COMPUTE_PGM_RSRC2:SCRATCH_EN: 0
; COMPUTE_PGM_RSRC2:USER_SGPR: 6
; COMPUTE_PGM_RSRC2:TRAP_HANDLER: 0
; COMPUTE_PGM_RSRC2:TGID_X_EN: 1
; COMPUTE_PGM_RSRC2:TGID_Y_EN: 0
; COMPUTE_PGM_RSRC2:TGID_Z_EN: 0
; COMPUTE_PGM_RSRC2:TIDIG_COMP_CNT: 1
	.section	.text._ZN2at6native41tensor_kernel_scan_outer_dim_with_indicesIN3c108BFloat16ESt10less_equalIS3_EEEvPKT_PS6_PljjjS6_T0_,"axG",@progbits,_ZN2at6native41tensor_kernel_scan_outer_dim_with_indicesIN3c108BFloat16ESt10less_equalIS3_EEEvPKT_PS6_PljjjS6_T0_,comdat
	.protected	_ZN2at6native41tensor_kernel_scan_outer_dim_with_indicesIN3c108BFloat16ESt10less_equalIS3_EEEvPKT_PS6_PljjjS6_T0_ ; -- Begin function _ZN2at6native41tensor_kernel_scan_outer_dim_with_indicesIN3c108BFloat16ESt10less_equalIS3_EEEvPKT_PS6_PljjjS6_T0_
	.globl	_ZN2at6native41tensor_kernel_scan_outer_dim_with_indicesIN3c108BFloat16ESt10less_equalIS3_EEEvPKT_PS6_PljjjS6_T0_
	.p2align	8
	.type	_ZN2at6native41tensor_kernel_scan_outer_dim_with_indicesIN3c108BFloat16ESt10less_equalIS3_EEEvPKT_PS6_PljjjS6_T0_,@function
_ZN2at6native41tensor_kernel_scan_outer_dim_with_indicesIN3c108BFloat16ESt10less_equalIS3_EEEvPKT_PS6_PljjjS6_T0_: ; @_ZN2at6native41tensor_kernel_scan_outer_dim_with_indicesIN3c108BFloat16ESt10less_equalIS3_EEEvPKT_PS6_PljjjS6_T0_
; %bb.0:
	s_load_dwordx4 s[8:11], s[4:5], 0x18
	s_waitcnt lgkmcnt(0)
	s_cmp_ge_u32 s6, s8
	s_cbranch_scc1 .LBB39_13
; %bb.1:
	s_clause 0x3
	s_load_dword s0, s[4:5], 0x34
	s_load_dword s1, s[4:5], 0x28
	s_load_dwordx4 s[12:15], s[4:5], 0x0
	s_load_dwordx2 s[2:3], s[4:5], 0x10
	s_add_u32 s4, s4, 40
	s_addc_u32 s5, s5, 0
	s_mul_i32 s18, s6, s10
	v_mov_b32_e32 v2, 0
	s_mov_b32 s17, 0
	s_mov_b32 s16, s9
	s_mul_i32 s22, s18, s9
	s_waitcnt lgkmcnt(0)
	s_and_b32 s26, s0, 0xffff
	s_cmp_lg_u32 s10, 0
	v_mad_u64_u32 v[0:1], null, s7, s26, v[0:1]
	s_mul_i32 s7, s1, s10
	s_cselect_b32 s27, -1, 0
	s_mul_i32 s7, s7, s9
	s_lshl_b64 s[18:19], s[16:17], 3
	s_lshl_b64 s[20:21], s[16:17], 1
	s_mov_b32 s16, s22
	v_cmp_gt_u32_e64 s0, s9, v0
	s_branch .LBB39_3
.LBB39_2:                               ;   in Loop: Header=BB39_3 Depth=1
	s_or_b32 exec_lo, exec_lo, s28
	s_add_i32 s6, s1, s6
	s_add_i32 s16, s16, s7
	s_cmp_ge_u32 s6, s8
	s_cbranch_scc1 .LBB39_13
.LBB39_3:                               ; =>This Loop Header: Depth=1
                                        ;     Child Loop BB39_6 Depth 2
                                        ;       Child Loop BB39_9 Depth 3
	s_and_saveexec_b32 s28, s0
	s_cbranch_execz .LBB39_2
; %bb.4:                                ;   in Loop: Header=BB39_3 Depth=1
	s_load_dword s31, s[4:5], 0x4
	s_lshl_b64 s[24:25], s[16:17], 3
	v_mov_b32_e32 v1, v0
	s_lshl_b64 s[22:23], s[16:17], 1
	s_add_u32 s29, s2, s24
	s_addc_u32 s30, s3, s25
	s_mov_b32 s33, 0
	s_waitcnt lgkmcnt(0)
	s_mul_i32 s31, s31, s26
	s_branch .LBB39_6
.LBB39_5:                               ;   in Loop: Header=BB39_6 Depth=2
	s_inst_prefetch 0x2
	v_add_nc_u32_e32 v1, s31, v1
	v_cmp_le_u32_e32 vcc_lo, s9, v1
	s_or_b32 s33, vcc_lo, s33
	s_andn2_b32 exec_lo, exec_lo, s33
	s_cbranch_execz .LBB39_2
.LBB39_6:                               ;   Parent Loop BB39_3 Depth=1
                                        ; =>  This Loop Header: Depth=2
                                        ;       Child Loop BB39_9 Depth 3
	s_andn2_b32 vcc_lo, exec_lo, s27
	s_cbranch_vccnz .LBB39_5
; %bb.7:                                ;   in Loop: Header=BB39_6 Depth=2
	v_lshlrev_b64 v[3:4], 3, v[1:2]
	v_lshlrev_b64 v[5:6], 1, v[1:2]
	v_mov_b32_e32 v9, s11
	s_mov_b64 s[24:25], 0
	v_add_co_u32 v3, vcc_lo, s29, v3
	v_add_co_ci_u32_e64 v4, null, s30, v4, vcc_lo
	v_add_co_u32 v7, vcc_lo, s22, v5
	v_add_co_ci_u32_e64 v8, null, s23, v6, vcc_lo
	v_mov_b32_e32 v5, 0
	v_mov_b32_e32 v6, 0
	s_inst_prefetch 0x1
	s_branch .LBB39_9
	.p2align	6
.LBB39_8:                               ;   in Loop: Header=BB39_9 Depth=3
	s_or_b32 exec_lo, exec_lo, s35
	v_add_co_u32 v10, vcc_lo, s14, v7
	v_add_co_ci_u32_e64 v11, null, s15, v8, vcc_lo
	global_store_dwordx2 v[3:4], v[5:6], off
	v_add_co_u32 v3, vcc_lo, v3, s18
	v_add_co_ci_u32_e64 v4, null, s19, v4, vcc_lo
	v_add_co_u32 v7, vcc_lo, v7, s20
	v_add_co_ci_u32_e64 v8, null, s21, v8, vcc_lo
	s_add_u32 s24, s24, 1
	s_addc_u32 s25, s25, 0
	s_cmp_eq_u32 s10, s24
	global_store_short v[10:11], v9, off
	s_cbranch_scc1 .LBB39_5
.LBB39_9:                               ;   Parent Loop BB39_3 Depth=1
                                        ;     Parent Loop BB39_6 Depth=2
                                        ; =>    This Inner Loop Header: Depth=3
	v_add_co_u32 v10, vcc_lo, s12, v7
	v_add_co_ci_u32_e64 v11, null, s13, v8, vcc_lo
	s_mov_b32 s35, exec_lo
	global_load_ushort v10, v[10:11], off
	s_waitcnt vmcnt(0)
	v_lshlrev_b32_e32 v11, 16, v10
	v_cmp_u_f32_e64 s34, v11, v11
	v_cmpx_o_f32_e32 v11, v11
; %bb.10:                               ;   in Loop: Header=BB39_9 Depth=3
	v_lshlrev_b32_e32 v12, 16, v9
	s_andn2_b32 s34, s34, exec_lo
	v_cmp_le_f32_e32 vcc_lo, v11, v12
	s_and_b32 s36, vcc_lo, exec_lo
	s_or_b32 s34, s34, s36
; %bb.11:                               ;   in Loop: Header=BB39_9 Depth=3
	s_or_b32 exec_lo, exec_lo, s35
	s_and_saveexec_b32 s35, s34
	s_cbranch_execz .LBB39_8
; %bb.12:                               ;   in Loop: Header=BB39_9 Depth=3
	v_mov_b32_e32 v5, s24
	v_mov_b32_e32 v6, s25
	;; [unrolled: 1-line block ×3, first 2 shown]
	s_branch .LBB39_8
.LBB39_13:
	s_endpgm
	.section	.rodata,"a",@progbits
	.p2align	6, 0x0
	.amdhsa_kernel _ZN2at6native41tensor_kernel_scan_outer_dim_with_indicesIN3c108BFloat16ESt10less_equalIS3_EEEvPKT_PS6_PljjjS6_T0_
		.amdhsa_group_segment_fixed_size 0
		.amdhsa_private_segment_fixed_size 0
		.amdhsa_kernarg_size 296
		.amdhsa_user_sgpr_count 6
		.amdhsa_user_sgpr_private_segment_buffer 1
		.amdhsa_user_sgpr_dispatch_ptr 0
		.amdhsa_user_sgpr_queue_ptr 0
		.amdhsa_user_sgpr_kernarg_segment_ptr 1
		.amdhsa_user_sgpr_dispatch_id 0
		.amdhsa_user_sgpr_flat_scratch_init 0
		.amdhsa_user_sgpr_private_segment_size 0
		.amdhsa_wavefront_size32 1
		.amdhsa_uses_dynamic_stack 0
		.amdhsa_system_sgpr_private_segment_wavefront_offset 0
		.amdhsa_system_sgpr_workgroup_id_x 1
		.amdhsa_system_sgpr_workgroup_id_y 1
		.amdhsa_system_sgpr_workgroup_id_z 0
		.amdhsa_system_sgpr_workgroup_info 0
		.amdhsa_system_vgpr_workitem_id 0
		.amdhsa_next_free_vgpr 13
		.amdhsa_next_free_sgpr 37
		.amdhsa_reserve_vcc 1
		.amdhsa_reserve_flat_scratch 0
		.amdhsa_float_round_mode_32 0
		.amdhsa_float_round_mode_16_64 0
		.amdhsa_float_denorm_mode_32 3
		.amdhsa_float_denorm_mode_16_64 3
		.amdhsa_dx10_clamp 1
		.amdhsa_ieee_mode 1
		.amdhsa_fp16_overflow 0
		.amdhsa_workgroup_processor_mode 1
		.amdhsa_memory_ordered 1
		.amdhsa_forward_progress 1
		.amdhsa_shared_vgpr_count 0
		.amdhsa_exception_fp_ieee_invalid_op 0
		.amdhsa_exception_fp_denorm_src 0
		.amdhsa_exception_fp_ieee_div_zero 0
		.amdhsa_exception_fp_ieee_overflow 0
		.amdhsa_exception_fp_ieee_underflow 0
		.amdhsa_exception_fp_ieee_inexact 0
		.amdhsa_exception_int_div_zero 0
	.end_amdhsa_kernel
	.section	.text._ZN2at6native41tensor_kernel_scan_outer_dim_with_indicesIN3c108BFloat16ESt10less_equalIS3_EEEvPKT_PS6_PljjjS6_T0_,"axG",@progbits,_ZN2at6native41tensor_kernel_scan_outer_dim_with_indicesIN3c108BFloat16ESt10less_equalIS3_EEEvPKT_PS6_PljjjS6_T0_,comdat
.Lfunc_end39:
	.size	_ZN2at6native41tensor_kernel_scan_outer_dim_with_indicesIN3c108BFloat16ESt10less_equalIS3_EEEvPKT_PS6_PljjjS6_T0_, .Lfunc_end39-_ZN2at6native41tensor_kernel_scan_outer_dim_with_indicesIN3c108BFloat16ESt10less_equalIS3_EEEvPKT_PS6_PljjjS6_T0_
                                        ; -- End function
	.set _ZN2at6native41tensor_kernel_scan_outer_dim_with_indicesIN3c108BFloat16ESt10less_equalIS3_EEEvPKT_PS6_PljjjS6_T0_.num_vgpr, 13
	.set _ZN2at6native41tensor_kernel_scan_outer_dim_with_indicesIN3c108BFloat16ESt10less_equalIS3_EEEvPKT_PS6_PljjjS6_T0_.num_agpr, 0
	.set _ZN2at6native41tensor_kernel_scan_outer_dim_with_indicesIN3c108BFloat16ESt10less_equalIS3_EEEvPKT_PS6_PljjjS6_T0_.numbered_sgpr, 37
	.set _ZN2at6native41tensor_kernel_scan_outer_dim_with_indicesIN3c108BFloat16ESt10less_equalIS3_EEEvPKT_PS6_PljjjS6_T0_.num_named_barrier, 0
	.set _ZN2at6native41tensor_kernel_scan_outer_dim_with_indicesIN3c108BFloat16ESt10less_equalIS3_EEEvPKT_PS6_PljjjS6_T0_.private_seg_size, 0
	.set _ZN2at6native41tensor_kernel_scan_outer_dim_with_indicesIN3c108BFloat16ESt10less_equalIS3_EEEvPKT_PS6_PljjjS6_T0_.uses_vcc, 1
	.set _ZN2at6native41tensor_kernel_scan_outer_dim_with_indicesIN3c108BFloat16ESt10less_equalIS3_EEEvPKT_PS6_PljjjS6_T0_.uses_flat_scratch, 0
	.set _ZN2at6native41tensor_kernel_scan_outer_dim_with_indicesIN3c108BFloat16ESt10less_equalIS3_EEEvPKT_PS6_PljjjS6_T0_.has_dyn_sized_stack, 0
	.set _ZN2at6native41tensor_kernel_scan_outer_dim_with_indicesIN3c108BFloat16ESt10less_equalIS3_EEEvPKT_PS6_PljjjS6_T0_.has_recursion, 0
	.set _ZN2at6native41tensor_kernel_scan_outer_dim_with_indicesIN3c108BFloat16ESt10less_equalIS3_EEEvPKT_PS6_PljjjS6_T0_.has_indirect_call, 0
	.section	.AMDGPU.csdata,"",@progbits
; Kernel info:
; codeLenInByte = 504
; TotalNumSgprs: 39
; NumVgprs: 13
; ScratchSize: 0
; MemoryBound: 0
; FloatMode: 240
; IeeeMode: 1
; LDSByteSize: 0 bytes/workgroup (compile time only)
; SGPRBlocks: 0
; VGPRBlocks: 1
; NumSGPRsForWavesPerEU: 39
; NumVGPRsForWavesPerEU: 13
; Occupancy: 16
; WaveLimiterHint : 0
; COMPUTE_PGM_RSRC2:SCRATCH_EN: 0
; COMPUTE_PGM_RSRC2:USER_SGPR: 6
; COMPUTE_PGM_RSRC2:TRAP_HANDLER: 0
; COMPUTE_PGM_RSRC2:TGID_X_EN: 1
; COMPUTE_PGM_RSRC2:TGID_Y_EN: 1
; COMPUTE_PGM_RSRC2:TGID_Z_EN: 0
; COMPUTE_PGM_RSRC2:TIDIG_COMP_CNT: 0
	.section	.AMDGPU.gpr_maximums,"",@progbits
	.set amdgpu.max_num_vgpr, 0
	.set amdgpu.max_num_agpr, 0
	.set amdgpu.max_num_sgpr, 0
	.section	.AMDGPU.csdata,"",@progbits
	.type	__hip_cuid_904daf9ec2d96ea2,@object ; @__hip_cuid_904daf9ec2d96ea2
	.section	.bss,"aw",@nobits
	.globl	__hip_cuid_904daf9ec2d96ea2
__hip_cuid_904daf9ec2d96ea2:
	.byte	0                               ; 0x0
	.size	__hip_cuid_904daf9ec2d96ea2, 1

	.ident	"AMD clang version 22.0.0git (https://github.com/RadeonOpenCompute/llvm-project roc-7.2.4 26084 f58b06dce1f9c15707c5f808fd002e18c2accf7e)"
	.section	".note.GNU-stack","",@progbits
	.addrsig
	.addrsig_sym __hip_cuid_904daf9ec2d96ea2
	.amdgpu_metadata
---
amdhsa.kernels:
  - .args:
      - .address_space:  global
        .offset:         0
        .size:           8
        .value_kind:     global_buffer
      - .address_space:  global
        .offset:         8
        .size:           8
        .value_kind:     global_buffer
      - .address_space:  global
        .offset:         16
        .size:           8
        .value_kind:     global_buffer
      - .offset:         24
        .size:           4
        .value_kind:     by_value
      - .offset:         28
        .size:           4
        .value_kind:     by_value
      - .offset:         32
        .size:           4
        .value_kind:     by_value
      - .offset:         36
        .size:           4
        .value_kind:     by_value
      - .offset:         40
        .size:           1
        .value_kind:     by_value
      - .offset:         41
        .size:           1
        .value_kind:     by_value
      - .offset:         48
        .size:           4
        .value_kind:     hidden_block_count_x
      - .offset:         52
        .size:           4
        .value_kind:     hidden_block_count_y
      - .offset:         56
        .size:           4
        .value_kind:     hidden_block_count_z
      - .offset:         60
        .size:           2
        .value_kind:     hidden_group_size_x
      - .offset:         62
        .size:           2
        .value_kind:     hidden_group_size_y
      - .offset:         64
        .size:           2
        .value_kind:     hidden_group_size_z
      - .offset:         66
        .size:           2
        .value_kind:     hidden_remainder_x
      - .offset:         68
        .size:           2
        .value_kind:     hidden_remainder_y
      - .offset:         70
        .size:           2
        .value_kind:     hidden_remainder_z
      - .offset:         88
        .size:           8
        .value_kind:     hidden_global_offset_x
      - .offset:         96
        .size:           8
        .value_kind:     hidden_global_offset_y
      - .offset:         104
        .size:           8
        .value_kind:     hidden_global_offset_z
      - .offset:         112
        .size:           2
        .value_kind:     hidden_grid_dims
      - .offset:         168
        .size:           4
        .value_kind:     hidden_dynamic_lds_size
    .group_segment_fixed_size: 0
    .kernarg_segment_align: 8
    .kernarg_segment_size: 304
    .language:       OpenCL C
    .language_version:
      - 2
      - 0
    .max_flat_workgroup_size: 1024
    .name:           _ZN2at6native45tensor_kernel_scan_innermost_dim_with_indicesIhSt13greater_equalIhEEEvPKT_PS4_PliijjS4_T0_
    .private_segment_fixed_size: 0
    .sgpr_count:     23
    .sgpr_spill_count: 0
    .symbol:         _ZN2at6native45tensor_kernel_scan_innermost_dim_with_indicesIhSt13greater_equalIhEEEvPKT_PS4_PliijjS4_T0_.kd
    .uniform_work_group_size: 1
    .uses_dynamic_stack: false
    .vgpr_count:     27
    .vgpr_spill_count: 0
    .wavefront_size: 32
    .workgroup_processor_mode: 1
  - .args:
      - .address_space:  global
        .offset:         0
        .size:           8
        .value_kind:     global_buffer
      - .address_space:  global
        .offset:         8
        .size:           8
        .value_kind:     global_buffer
      - .address_space:  global
        .offset:         16
        .size:           8
        .value_kind:     global_buffer
      - .offset:         24
        .size:           4
        .value_kind:     by_value
      - .offset:         28
        .size:           4
        .value_kind:     by_value
      - .offset:         32
        .size:           4
        .value_kind:     by_value
      - .offset:         36
        .size:           1
        .value_kind:     by_value
      - .offset:         37
        .size:           1
        .value_kind:     by_value
      - .offset:         40
        .size:           4
        .value_kind:     hidden_block_count_x
      - .offset:         44
        .size:           4
        .value_kind:     hidden_block_count_y
      - .offset:         48
        .size:           4
        .value_kind:     hidden_block_count_z
      - .offset:         52
        .size:           2
        .value_kind:     hidden_group_size_x
      - .offset:         54
        .size:           2
        .value_kind:     hidden_group_size_y
      - .offset:         56
        .size:           2
        .value_kind:     hidden_group_size_z
      - .offset:         58
        .size:           2
        .value_kind:     hidden_remainder_x
      - .offset:         60
        .size:           2
        .value_kind:     hidden_remainder_y
      - .offset:         62
        .size:           2
        .value_kind:     hidden_remainder_z
      - .offset:         80
        .size:           8
        .value_kind:     hidden_global_offset_x
      - .offset:         88
        .size:           8
        .value_kind:     hidden_global_offset_y
      - .offset:         96
        .size:           8
        .value_kind:     hidden_global_offset_z
      - .offset:         104
        .size:           2
        .value_kind:     hidden_grid_dims
    .group_segment_fixed_size: 0
    .kernarg_segment_align: 8
    .kernarg_segment_size: 296
    .language:       OpenCL C
    .language_version:
      - 2
      - 0
    .max_flat_workgroup_size: 1024
    .name:           _ZN2at6native41tensor_kernel_scan_outer_dim_with_indicesIhSt13greater_equalIhEEEvPKT_PS4_PljjjS4_T0_
    .private_segment_fixed_size: 0
    .sgpr_count:     32
    .sgpr_spill_count: 0
    .symbol:         _ZN2at6native41tensor_kernel_scan_outer_dim_with_indicesIhSt13greater_equalIhEEEvPKT_PS4_PljjjS4_T0_.kd
    .uniform_work_group_size: 1
    .uses_dynamic_stack: false
    .vgpr_count:     13
    .vgpr_spill_count: 0
    .wavefront_size: 32
    .workgroup_processor_mode: 1
  - .args:
      - .address_space:  global
        .offset:         0
        .size:           8
        .value_kind:     global_buffer
      - .address_space:  global
        .offset:         8
        .size:           8
        .value_kind:     global_buffer
      - .address_space:  global
        .offset:         16
        .size:           8
        .value_kind:     global_buffer
      - .offset:         24
        .size:           4
        .value_kind:     by_value
      - .offset:         28
        .size:           4
        .value_kind:     by_value
      - .offset:         32
        .size:           4
        .value_kind:     by_value
      - .offset:         36
        .size:           4
        .value_kind:     by_value
      - .offset:         40
        .size:           1
        .value_kind:     by_value
      - .offset:         41
        .size:           1
        .value_kind:     by_value
      - .offset:         48
        .size:           4
        .value_kind:     hidden_block_count_x
      - .offset:         52
        .size:           4
        .value_kind:     hidden_block_count_y
      - .offset:         56
        .size:           4
        .value_kind:     hidden_block_count_z
      - .offset:         60
        .size:           2
        .value_kind:     hidden_group_size_x
      - .offset:         62
        .size:           2
        .value_kind:     hidden_group_size_y
      - .offset:         64
        .size:           2
        .value_kind:     hidden_group_size_z
      - .offset:         66
        .size:           2
        .value_kind:     hidden_remainder_x
      - .offset:         68
        .size:           2
        .value_kind:     hidden_remainder_y
      - .offset:         70
        .size:           2
        .value_kind:     hidden_remainder_z
      - .offset:         88
        .size:           8
        .value_kind:     hidden_global_offset_x
      - .offset:         96
        .size:           8
        .value_kind:     hidden_global_offset_y
      - .offset:         104
        .size:           8
        .value_kind:     hidden_global_offset_z
      - .offset:         112
        .size:           2
        .value_kind:     hidden_grid_dims
      - .offset:         168
        .size:           4
        .value_kind:     hidden_dynamic_lds_size
    .group_segment_fixed_size: 0
    .kernarg_segment_align: 8
    .kernarg_segment_size: 304
    .language:       OpenCL C
    .language_version:
      - 2
      - 0
    .max_flat_workgroup_size: 1024
    .name:           _ZN2at6native45tensor_kernel_scan_innermost_dim_with_indicesIaSt13greater_equalIaEEEvPKT_PS4_PliijjS4_T0_
    .private_segment_fixed_size: 0
    .sgpr_count:     23
    .sgpr_spill_count: 0
    .symbol:         _ZN2at6native45tensor_kernel_scan_innermost_dim_with_indicesIaSt13greater_equalIaEEEvPKT_PS4_PliijjS4_T0_.kd
    .uniform_work_group_size: 1
    .uses_dynamic_stack: false
    .vgpr_count:     27
    .vgpr_spill_count: 0
    .wavefront_size: 32
    .workgroup_processor_mode: 1
  - .args:
      - .address_space:  global
        .offset:         0
        .size:           8
        .value_kind:     global_buffer
      - .address_space:  global
        .offset:         8
        .size:           8
        .value_kind:     global_buffer
      - .address_space:  global
        .offset:         16
        .size:           8
        .value_kind:     global_buffer
      - .offset:         24
        .size:           4
        .value_kind:     by_value
      - .offset:         28
        .size:           4
        .value_kind:     by_value
      - .offset:         32
        .size:           4
        .value_kind:     by_value
      - .offset:         36
        .size:           1
        .value_kind:     by_value
      - .offset:         37
        .size:           1
        .value_kind:     by_value
      - .offset:         40
        .size:           4
        .value_kind:     hidden_block_count_x
      - .offset:         44
        .size:           4
        .value_kind:     hidden_block_count_y
      - .offset:         48
        .size:           4
        .value_kind:     hidden_block_count_z
      - .offset:         52
        .size:           2
        .value_kind:     hidden_group_size_x
      - .offset:         54
        .size:           2
        .value_kind:     hidden_group_size_y
      - .offset:         56
        .size:           2
        .value_kind:     hidden_group_size_z
      - .offset:         58
        .size:           2
        .value_kind:     hidden_remainder_x
      - .offset:         60
        .size:           2
        .value_kind:     hidden_remainder_y
      - .offset:         62
        .size:           2
        .value_kind:     hidden_remainder_z
      - .offset:         80
        .size:           8
        .value_kind:     hidden_global_offset_x
      - .offset:         88
        .size:           8
        .value_kind:     hidden_global_offset_y
      - .offset:         96
        .size:           8
        .value_kind:     hidden_global_offset_z
      - .offset:         104
        .size:           2
        .value_kind:     hidden_grid_dims
    .group_segment_fixed_size: 0
    .kernarg_segment_align: 8
    .kernarg_segment_size: 296
    .language:       OpenCL C
    .language_version:
      - 2
      - 0
    .max_flat_workgroup_size: 1024
    .name:           _ZN2at6native41tensor_kernel_scan_outer_dim_with_indicesIaSt13greater_equalIaEEEvPKT_PS4_PljjjS4_T0_
    .private_segment_fixed_size: 0
    .sgpr_count:     32
    .sgpr_spill_count: 0
    .symbol:         _ZN2at6native41tensor_kernel_scan_outer_dim_with_indicesIaSt13greater_equalIaEEEvPKT_PS4_PljjjS4_T0_.kd
    .uniform_work_group_size: 1
    .uses_dynamic_stack: false
    .vgpr_count:     13
    .vgpr_spill_count: 0
    .wavefront_size: 32
    .workgroup_processor_mode: 1
  - .args:
      - .address_space:  global
        .offset:         0
        .size:           8
        .value_kind:     global_buffer
      - .address_space:  global
        .offset:         8
        .size:           8
        .value_kind:     global_buffer
      - .address_space:  global
        .offset:         16
        .size:           8
        .value_kind:     global_buffer
      - .offset:         24
        .size:           4
        .value_kind:     by_value
      - .offset:         28
        .size:           4
        .value_kind:     by_value
      - .offset:         32
        .size:           4
        .value_kind:     by_value
      - .offset:         36
        .size:           4
        .value_kind:     by_value
      - .offset:         40
        .size:           4
        .value_kind:     by_value
      - .offset:         44
        .size:           1
        .value_kind:     by_value
      - .offset:         48
        .size:           4
        .value_kind:     hidden_block_count_x
      - .offset:         52
        .size:           4
        .value_kind:     hidden_block_count_y
      - .offset:         56
        .size:           4
        .value_kind:     hidden_block_count_z
      - .offset:         60
        .size:           2
        .value_kind:     hidden_group_size_x
      - .offset:         62
        .size:           2
        .value_kind:     hidden_group_size_y
      - .offset:         64
        .size:           2
        .value_kind:     hidden_group_size_z
      - .offset:         66
        .size:           2
        .value_kind:     hidden_remainder_x
      - .offset:         68
        .size:           2
        .value_kind:     hidden_remainder_y
      - .offset:         70
        .size:           2
        .value_kind:     hidden_remainder_z
      - .offset:         88
        .size:           8
        .value_kind:     hidden_global_offset_x
      - .offset:         96
        .size:           8
        .value_kind:     hidden_global_offset_y
      - .offset:         104
        .size:           8
        .value_kind:     hidden_global_offset_z
      - .offset:         112
        .size:           2
        .value_kind:     hidden_grid_dims
      - .offset:         168
        .size:           4
        .value_kind:     hidden_dynamic_lds_size
    .group_segment_fixed_size: 0
    .kernarg_segment_align: 8
    .kernarg_segment_size: 304
    .language:       OpenCL C
    .language_version:
      - 2
      - 0
    .max_flat_workgroup_size: 1024
    .name:           _ZN2at6native45tensor_kernel_scan_innermost_dim_with_indicesIiSt13greater_equalIiEEEvPKT_PS4_PliijjS4_T0_
    .private_segment_fixed_size: 0
    .sgpr_count:     23
    .sgpr_spill_count: 0
    .symbol:         _ZN2at6native45tensor_kernel_scan_innermost_dim_with_indicesIiSt13greater_equalIiEEEvPKT_PS4_PliijjS4_T0_.kd
    .uniform_work_group_size: 1
    .uses_dynamic_stack: false
    .vgpr_count:     25
    .vgpr_spill_count: 0
    .wavefront_size: 32
    .workgroup_processor_mode: 1
  - .args:
      - .address_space:  global
        .offset:         0
        .size:           8
        .value_kind:     global_buffer
      - .address_space:  global
        .offset:         8
        .size:           8
        .value_kind:     global_buffer
      - .address_space:  global
        .offset:         16
        .size:           8
        .value_kind:     global_buffer
      - .offset:         24
        .size:           4
        .value_kind:     by_value
      - .offset:         28
        .size:           4
        .value_kind:     by_value
      - .offset:         32
        .size:           4
        .value_kind:     by_value
      - .offset:         36
        .size:           4
        .value_kind:     by_value
      - .offset:         40
        .size:           1
        .value_kind:     by_value
      - .offset:         48
        .size:           4
        .value_kind:     hidden_block_count_x
      - .offset:         52
        .size:           4
        .value_kind:     hidden_block_count_y
      - .offset:         56
        .size:           4
        .value_kind:     hidden_block_count_z
      - .offset:         60
        .size:           2
        .value_kind:     hidden_group_size_x
      - .offset:         62
        .size:           2
        .value_kind:     hidden_group_size_y
      - .offset:         64
        .size:           2
        .value_kind:     hidden_group_size_z
      - .offset:         66
        .size:           2
        .value_kind:     hidden_remainder_x
      - .offset:         68
        .size:           2
        .value_kind:     hidden_remainder_y
      - .offset:         70
        .size:           2
        .value_kind:     hidden_remainder_z
      - .offset:         88
        .size:           8
        .value_kind:     hidden_global_offset_x
      - .offset:         96
        .size:           8
        .value_kind:     hidden_global_offset_y
      - .offset:         104
        .size:           8
        .value_kind:     hidden_global_offset_z
      - .offset:         112
        .size:           2
        .value_kind:     hidden_grid_dims
    .group_segment_fixed_size: 0
    .kernarg_segment_align: 8
    .kernarg_segment_size: 304
    .language:       OpenCL C
    .language_version:
      - 2
      - 0
    .max_flat_workgroup_size: 1024
    .name:           _ZN2at6native41tensor_kernel_scan_outer_dim_with_indicesIiSt13greater_equalIiEEEvPKT_PS4_PljjjS4_T0_
    .private_segment_fixed_size: 0
    .sgpr_count:     36
    .sgpr_spill_count: 0
    .symbol:         _ZN2at6native41tensor_kernel_scan_outer_dim_with_indicesIiSt13greater_equalIiEEEvPKT_PS4_PljjjS4_T0_.kd
    .uniform_work_group_size: 1
    .uses_dynamic_stack: false
    .vgpr_count:     13
    .vgpr_spill_count: 0
    .wavefront_size: 32
    .workgroup_processor_mode: 1
  - .args:
      - .address_space:  global
        .offset:         0
        .size:           8
        .value_kind:     global_buffer
      - .address_space:  global
        .offset:         8
        .size:           8
        .value_kind:     global_buffer
      - .address_space:  global
        .offset:         16
        .size:           8
        .value_kind:     global_buffer
      - .offset:         24
        .size:           4
        .value_kind:     by_value
      - .offset:         28
        .size:           4
        .value_kind:     by_value
      - .offset:         32
        .size:           4
        .value_kind:     by_value
      - .offset:         36
        .size:           4
        .value_kind:     by_value
      - .offset:         40
        .size:           8
        .value_kind:     by_value
      - .offset:         48
        .size:           1
        .value_kind:     by_value
      - .offset:         56
        .size:           4
        .value_kind:     hidden_block_count_x
      - .offset:         60
        .size:           4
        .value_kind:     hidden_block_count_y
      - .offset:         64
        .size:           4
        .value_kind:     hidden_block_count_z
      - .offset:         68
        .size:           2
        .value_kind:     hidden_group_size_x
      - .offset:         70
        .size:           2
        .value_kind:     hidden_group_size_y
      - .offset:         72
        .size:           2
        .value_kind:     hidden_group_size_z
      - .offset:         74
        .size:           2
        .value_kind:     hidden_remainder_x
      - .offset:         76
        .size:           2
        .value_kind:     hidden_remainder_y
      - .offset:         78
        .size:           2
        .value_kind:     hidden_remainder_z
      - .offset:         96
        .size:           8
        .value_kind:     hidden_global_offset_x
      - .offset:         104
        .size:           8
        .value_kind:     hidden_global_offset_y
      - .offset:         112
        .size:           8
        .value_kind:     hidden_global_offset_z
      - .offset:         120
        .size:           2
        .value_kind:     hidden_grid_dims
      - .offset:         176
        .size:           4
        .value_kind:     hidden_dynamic_lds_size
    .group_segment_fixed_size: 0
    .kernarg_segment_align: 8
    .kernarg_segment_size: 312
    .language:       OpenCL C
    .language_version:
      - 2
      - 0
    .max_flat_workgroup_size: 1024
    .name:           _ZN2at6native45tensor_kernel_scan_innermost_dim_with_indicesIlSt13greater_equalIlEEEvPKT_PS4_PliijjS4_T0_
    .private_segment_fixed_size: 0
    .sgpr_count:     24
    .sgpr_spill_count: 0
    .symbol:         _ZN2at6native45tensor_kernel_scan_innermost_dim_with_indicesIlSt13greater_equalIlEEEvPKT_PS4_PliijjS4_T0_.kd
    .uniform_work_group_size: 1
    .uses_dynamic_stack: false
    .vgpr_count:     26
    .vgpr_spill_count: 0
    .wavefront_size: 32
    .workgroup_processor_mode: 1
  - .args:
      - .address_space:  global
        .offset:         0
        .size:           8
        .value_kind:     global_buffer
      - .address_space:  global
        .offset:         8
        .size:           8
        .value_kind:     global_buffer
      - .address_space:  global
        .offset:         16
        .size:           8
        .value_kind:     global_buffer
      - .offset:         24
        .size:           4
        .value_kind:     by_value
      - .offset:         28
        .size:           4
        .value_kind:     by_value
      - .offset:         32
        .size:           4
        .value_kind:     by_value
      - .offset:         40
        .size:           8
        .value_kind:     by_value
      - .offset:         48
        .size:           1
        .value_kind:     by_value
      - .offset:         56
        .size:           4
        .value_kind:     hidden_block_count_x
      - .offset:         60
        .size:           4
        .value_kind:     hidden_block_count_y
      - .offset:         64
        .size:           4
        .value_kind:     hidden_block_count_z
      - .offset:         68
        .size:           2
        .value_kind:     hidden_group_size_x
      - .offset:         70
        .size:           2
        .value_kind:     hidden_group_size_y
      - .offset:         72
        .size:           2
        .value_kind:     hidden_group_size_z
      - .offset:         74
        .size:           2
        .value_kind:     hidden_remainder_x
      - .offset:         76
        .size:           2
        .value_kind:     hidden_remainder_y
      - .offset:         78
        .size:           2
        .value_kind:     hidden_remainder_z
      - .offset:         96
        .size:           8
        .value_kind:     hidden_global_offset_x
      - .offset:         104
        .size:           8
        .value_kind:     hidden_global_offset_y
      - .offset:         112
        .size:           8
        .value_kind:     hidden_global_offset_z
      - .offset:         120
        .size:           2
        .value_kind:     hidden_grid_dims
    .group_segment_fixed_size: 0
    .kernarg_segment_align: 8
    .kernarg_segment_size: 312
    .language:       OpenCL C
    .language_version:
      - 2
      - 0
    .max_flat_workgroup_size: 1024
    .name:           _ZN2at6native41tensor_kernel_scan_outer_dim_with_indicesIlSt13greater_equalIlEEEvPKT_PS4_PljjjS4_T0_
    .private_segment_fixed_size: 0
    .sgpr_count:     34
    .sgpr_spill_count: 0
    .symbol:         _ZN2at6native41tensor_kernel_scan_outer_dim_with_indicesIlSt13greater_equalIlEEEvPKT_PS4_PljjjS4_T0_.kd
    .uniform_work_group_size: 1
    .uses_dynamic_stack: false
    .vgpr_count:     15
    .vgpr_spill_count: 0
    .wavefront_size: 32
    .workgroup_processor_mode: 1
  - .args:
      - .address_space:  global
        .offset:         0
        .size:           8
        .value_kind:     global_buffer
      - .address_space:  global
        .offset:         8
        .size:           8
        .value_kind:     global_buffer
      - .address_space:  global
        .offset:         16
        .size:           8
        .value_kind:     global_buffer
      - .offset:         24
        .size:           4
        .value_kind:     by_value
      - .offset:         28
        .size:           4
        .value_kind:     by_value
      - .offset:         32
        .size:           4
        .value_kind:     by_value
      - .offset:         36
        .size:           4
        .value_kind:     by_value
      - .offset:         40
        .size:           2
        .value_kind:     by_value
      - .offset:         42
        .size:           1
        .value_kind:     by_value
      - .offset:         48
        .size:           4
        .value_kind:     hidden_block_count_x
      - .offset:         52
        .size:           4
        .value_kind:     hidden_block_count_y
      - .offset:         56
        .size:           4
        .value_kind:     hidden_block_count_z
      - .offset:         60
        .size:           2
        .value_kind:     hidden_group_size_x
      - .offset:         62
        .size:           2
        .value_kind:     hidden_group_size_y
      - .offset:         64
        .size:           2
        .value_kind:     hidden_group_size_z
      - .offset:         66
        .size:           2
        .value_kind:     hidden_remainder_x
      - .offset:         68
        .size:           2
        .value_kind:     hidden_remainder_y
      - .offset:         70
        .size:           2
        .value_kind:     hidden_remainder_z
      - .offset:         88
        .size:           8
        .value_kind:     hidden_global_offset_x
      - .offset:         96
        .size:           8
        .value_kind:     hidden_global_offset_y
      - .offset:         104
        .size:           8
        .value_kind:     hidden_global_offset_z
      - .offset:         112
        .size:           2
        .value_kind:     hidden_grid_dims
      - .offset:         168
        .size:           4
        .value_kind:     hidden_dynamic_lds_size
    .group_segment_fixed_size: 0
    .kernarg_segment_align: 8
    .kernarg_segment_size: 304
    .language:       OpenCL C
    .language_version:
      - 2
      - 0
    .max_flat_workgroup_size: 1024
    .name:           _ZN2at6native45tensor_kernel_scan_innermost_dim_with_indicesIsSt13greater_equalIsEEEvPKT_PS4_PliijjS4_T0_
    .private_segment_fixed_size: 0
    .sgpr_count:     23
    .sgpr_spill_count: 0
    .symbol:         _ZN2at6native45tensor_kernel_scan_innermost_dim_with_indicesIsSt13greater_equalIsEEEvPKT_PS4_PliijjS4_T0_.kd
    .uniform_work_group_size: 1
    .uses_dynamic_stack: false
    .vgpr_count:     25
    .vgpr_spill_count: 0
    .wavefront_size: 32
    .workgroup_processor_mode: 1
  - .args:
      - .address_space:  global
        .offset:         0
        .size:           8
        .value_kind:     global_buffer
      - .address_space:  global
        .offset:         8
        .size:           8
        .value_kind:     global_buffer
      - .address_space:  global
        .offset:         16
        .size:           8
        .value_kind:     global_buffer
      - .offset:         24
        .size:           4
        .value_kind:     by_value
      - .offset:         28
        .size:           4
        .value_kind:     by_value
      - .offset:         32
        .size:           4
        .value_kind:     by_value
      - .offset:         36
        .size:           2
        .value_kind:     by_value
      - .offset:         38
        .size:           1
        .value_kind:     by_value
      - .offset:         40
        .size:           4
        .value_kind:     hidden_block_count_x
      - .offset:         44
        .size:           4
        .value_kind:     hidden_block_count_y
      - .offset:         48
        .size:           4
        .value_kind:     hidden_block_count_z
      - .offset:         52
        .size:           2
        .value_kind:     hidden_group_size_x
      - .offset:         54
        .size:           2
        .value_kind:     hidden_group_size_y
      - .offset:         56
        .size:           2
        .value_kind:     hidden_group_size_z
      - .offset:         58
        .size:           2
        .value_kind:     hidden_remainder_x
      - .offset:         60
        .size:           2
        .value_kind:     hidden_remainder_y
      - .offset:         62
        .size:           2
        .value_kind:     hidden_remainder_z
      - .offset:         80
        .size:           8
        .value_kind:     hidden_global_offset_x
      - .offset:         88
        .size:           8
        .value_kind:     hidden_global_offset_y
      - .offset:         96
        .size:           8
        .value_kind:     hidden_global_offset_z
      - .offset:         104
        .size:           2
        .value_kind:     hidden_grid_dims
    .group_segment_fixed_size: 0
    .kernarg_segment_align: 8
    .kernarg_segment_size: 296
    .language:       OpenCL C
    .language_version:
      - 2
      - 0
    .max_flat_workgroup_size: 1024
    .name:           _ZN2at6native41tensor_kernel_scan_outer_dim_with_indicesIsSt13greater_equalIsEEEvPKT_PS4_PljjjS4_T0_
    .private_segment_fixed_size: 0
    .sgpr_count:     36
    .sgpr_spill_count: 0
    .symbol:         _ZN2at6native41tensor_kernel_scan_outer_dim_with_indicesIsSt13greater_equalIsEEEvPKT_PS4_PljjjS4_T0_.kd
    .uniform_work_group_size: 1
    .uses_dynamic_stack: false
    .vgpr_count:     13
    .vgpr_spill_count: 0
    .wavefront_size: 32
    .workgroup_processor_mode: 1
  - .args:
      - .address_space:  global
        .offset:         0
        .size:           8
        .value_kind:     global_buffer
      - .address_space:  global
        .offset:         8
        .size:           8
        .value_kind:     global_buffer
      - .address_space:  global
        .offset:         16
        .size:           8
        .value_kind:     global_buffer
      - .offset:         24
        .size:           4
        .value_kind:     by_value
      - .offset:         28
        .size:           4
        .value_kind:     by_value
      - .offset:         32
        .size:           4
        .value_kind:     by_value
      - .offset:         36
        .size:           4
        .value_kind:     by_value
      - .offset:         40
        .size:           8
        .value_kind:     by_value
      - .offset:         48
        .size:           1
        .value_kind:     by_value
      - .offset:         56
        .size:           4
        .value_kind:     hidden_block_count_x
      - .offset:         60
        .size:           4
        .value_kind:     hidden_block_count_y
      - .offset:         64
        .size:           4
        .value_kind:     hidden_block_count_z
      - .offset:         68
        .size:           2
        .value_kind:     hidden_group_size_x
      - .offset:         70
        .size:           2
        .value_kind:     hidden_group_size_y
      - .offset:         72
        .size:           2
        .value_kind:     hidden_group_size_z
      - .offset:         74
        .size:           2
        .value_kind:     hidden_remainder_x
      - .offset:         76
        .size:           2
        .value_kind:     hidden_remainder_y
      - .offset:         78
        .size:           2
        .value_kind:     hidden_remainder_z
      - .offset:         96
        .size:           8
        .value_kind:     hidden_global_offset_x
      - .offset:         104
        .size:           8
        .value_kind:     hidden_global_offset_y
      - .offset:         112
        .size:           8
        .value_kind:     hidden_global_offset_z
      - .offset:         120
        .size:           2
        .value_kind:     hidden_grid_dims
      - .offset:         176
        .size:           4
        .value_kind:     hidden_dynamic_lds_size
    .group_segment_fixed_size: 0
    .kernarg_segment_align: 8
    .kernarg_segment_size: 312
    .language:       OpenCL C
    .language_version:
      - 2
      - 0
    .max_flat_workgroup_size: 1024
    .name:           _ZN2at6native45tensor_kernel_scan_innermost_dim_with_indicesIdSt13greater_equalIdEEEvPKT_PS4_PliijjS4_T0_
    .private_segment_fixed_size: 0
    .sgpr_count:     24
    .sgpr_spill_count: 0
    .symbol:         _ZN2at6native45tensor_kernel_scan_innermost_dim_with_indicesIdSt13greater_equalIdEEEvPKT_PS4_PliijjS4_T0_.kd
    .uniform_work_group_size: 1
    .uses_dynamic_stack: false
    .vgpr_count:     26
    .vgpr_spill_count: 0
    .wavefront_size: 32
    .workgroup_processor_mode: 1
  - .args:
      - .address_space:  global
        .offset:         0
        .size:           8
        .value_kind:     global_buffer
      - .address_space:  global
        .offset:         8
        .size:           8
        .value_kind:     global_buffer
      - .address_space:  global
        .offset:         16
        .size:           8
        .value_kind:     global_buffer
      - .offset:         24
        .size:           4
        .value_kind:     by_value
      - .offset:         28
        .size:           4
        .value_kind:     by_value
      - .offset:         32
        .size:           4
        .value_kind:     by_value
      - .offset:         40
        .size:           8
        .value_kind:     by_value
      - .offset:         48
        .size:           1
        .value_kind:     by_value
      - .offset:         56
        .size:           4
        .value_kind:     hidden_block_count_x
      - .offset:         60
        .size:           4
        .value_kind:     hidden_block_count_y
      - .offset:         64
        .size:           4
        .value_kind:     hidden_block_count_z
      - .offset:         68
        .size:           2
        .value_kind:     hidden_group_size_x
      - .offset:         70
        .size:           2
        .value_kind:     hidden_group_size_y
      - .offset:         72
        .size:           2
        .value_kind:     hidden_group_size_z
      - .offset:         74
        .size:           2
        .value_kind:     hidden_remainder_x
      - .offset:         76
        .size:           2
        .value_kind:     hidden_remainder_y
      - .offset:         78
        .size:           2
        .value_kind:     hidden_remainder_z
      - .offset:         96
        .size:           8
        .value_kind:     hidden_global_offset_x
      - .offset:         104
        .size:           8
        .value_kind:     hidden_global_offset_y
      - .offset:         112
        .size:           8
        .value_kind:     hidden_global_offset_z
      - .offset:         120
        .size:           2
        .value_kind:     hidden_grid_dims
    .group_segment_fixed_size: 0
    .kernarg_segment_align: 8
    .kernarg_segment_size: 312
    .language:       OpenCL C
    .language_version:
      - 2
      - 0
    .max_flat_workgroup_size: 1024
    .name:           _ZN2at6native41tensor_kernel_scan_outer_dim_with_indicesIdSt13greater_equalIdEEEvPKT_PS4_PljjjS4_T0_
    .private_segment_fixed_size: 0
    .sgpr_count:     34
    .sgpr_spill_count: 0
    .symbol:         _ZN2at6native41tensor_kernel_scan_outer_dim_with_indicesIdSt13greater_equalIdEEEvPKT_PS4_PljjjS4_T0_.kd
    .uniform_work_group_size: 1
    .uses_dynamic_stack: false
    .vgpr_count:     15
    .vgpr_spill_count: 0
    .wavefront_size: 32
    .workgroup_processor_mode: 1
  - .args:
      - .address_space:  global
        .offset:         0
        .size:           8
        .value_kind:     global_buffer
      - .address_space:  global
        .offset:         8
        .size:           8
        .value_kind:     global_buffer
      - .address_space:  global
        .offset:         16
        .size:           8
        .value_kind:     global_buffer
      - .offset:         24
        .size:           4
        .value_kind:     by_value
      - .offset:         28
        .size:           4
        .value_kind:     by_value
      - .offset:         32
        .size:           4
        .value_kind:     by_value
      - .offset:         36
        .size:           4
        .value_kind:     by_value
      - .offset:         40
        .size:           4
        .value_kind:     by_value
      - .offset:         44
        .size:           1
        .value_kind:     by_value
      - .offset:         48
        .size:           4
        .value_kind:     hidden_block_count_x
      - .offset:         52
        .size:           4
        .value_kind:     hidden_block_count_y
      - .offset:         56
        .size:           4
        .value_kind:     hidden_block_count_z
      - .offset:         60
        .size:           2
        .value_kind:     hidden_group_size_x
      - .offset:         62
        .size:           2
        .value_kind:     hidden_group_size_y
      - .offset:         64
        .size:           2
        .value_kind:     hidden_group_size_z
      - .offset:         66
        .size:           2
        .value_kind:     hidden_remainder_x
      - .offset:         68
        .size:           2
        .value_kind:     hidden_remainder_y
      - .offset:         70
        .size:           2
        .value_kind:     hidden_remainder_z
      - .offset:         88
        .size:           8
        .value_kind:     hidden_global_offset_x
      - .offset:         96
        .size:           8
        .value_kind:     hidden_global_offset_y
      - .offset:         104
        .size:           8
        .value_kind:     hidden_global_offset_z
      - .offset:         112
        .size:           2
        .value_kind:     hidden_grid_dims
      - .offset:         168
        .size:           4
        .value_kind:     hidden_dynamic_lds_size
    .group_segment_fixed_size: 0
    .kernarg_segment_align: 8
    .kernarg_segment_size: 304
    .language:       OpenCL C
    .language_version:
      - 2
      - 0
    .max_flat_workgroup_size: 1024
    .name:           _ZN2at6native45tensor_kernel_scan_innermost_dim_with_indicesIfSt13greater_equalIfEEEvPKT_PS4_PliijjS4_T0_
    .private_segment_fixed_size: 0
    .sgpr_count:     23
    .sgpr_spill_count: 0
    .symbol:         _ZN2at6native45tensor_kernel_scan_innermost_dim_with_indicesIfSt13greater_equalIfEEEvPKT_PS4_PliijjS4_T0_.kd
    .uniform_work_group_size: 1
    .uses_dynamic_stack: false
    .vgpr_count:     25
    .vgpr_spill_count: 0
    .wavefront_size: 32
    .workgroup_processor_mode: 1
  - .args:
      - .address_space:  global
        .offset:         0
        .size:           8
        .value_kind:     global_buffer
      - .address_space:  global
        .offset:         8
        .size:           8
        .value_kind:     global_buffer
      - .address_space:  global
        .offset:         16
        .size:           8
        .value_kind:     global_buffer
      - .offset:         24
        .size:           4
        .value_kind:     by_value
      - .offset:         28
        .size:           4
        .value_kind:     by_value
      - .offset:         32
        .size:           4
        .value_kind:     by_value
      - .offset:         36
        .size:           4
        .value_kind:     by_value
      - .offset:         40
        .size:           1
        .value_kind:     by_value
      - .offset:         48
        .size:           4
        .value_kind:     hidden_block_count_x
      - .offset:         52
        .size:           4
        .value_kind:     hidden_block_count_y
      - .offset:         56
        .size:           4
        .value_kind:     hidden_block_count_z
      - .offset:         60
        .size:           2
        .value_kind:     hidden_group_size_x
      - .offset:         62
        .size:           2
        .value_kind:     hidden_group_size_y
      - .offset:         64
        .size:           2
        .value_kind:     hidden_group_size_z
      - .offset:         66
        .size:           2
        .value_kind:     hidden_remainder_x
      - .offset:         68
        .size:           2
        .value_kind:     hidden_remainder_y
      - .offset:         70
        .size:           2
        .value_kind:     hidden_remainder_z
      - .offset:         88
        .size:           8
        .value_kind:     hidden_global_offset_x
      - .offset:         96
        .size:           8
        .value_kind:     hidden_global_offset_y
      - .offset:         104
        .size:           8
        .value_kind:     hidden_global_offset_z
      - .offset:         112
        .size:           2
        .value_kind:     hidden_grid_dims
    .group_segment_fixed_size: 0
    .kernarg_segment_align: 8
    .kernarg_segment_size: 304
    .language:       OpenCL C
    .language_version:
      - 2
      - 0
    .max_flat_workgroup_size: 1024
    .name:           _ZN2at6native41tensor_kernel_scan_outer_dim_with_indicesIfSt13greater_equalIfEEEvPKT_PS4_PljjjS4_T0_
    .private_segment_fixed_size: 0
    .sgpr_count:     37
    .sgpr_spill_count: 0
    .symbol:         _ZN2at6native41tensor_kernel_scan_outer_dim_with_indicesIfSt13greater_equalIfEEEvPKT_PS4_PljjjS4_T0_.kd
    .uniform_work_group_size: 1
    .uses_dynamic_stack: false
    .vgpr_count:     13
    .vgpr_spill_count: 0
    .wavefront_size: 32
    .workgroup_processor_mode: 1
  - .args:
      - .address_space:  global
        .offset:         0
        .size:           8
        .value_kind:     global_buffer
      - .address_space:  global
        .offset:         8
        .size:           8
        .value_kind:     global_buffer
      - .address_space:  global
        .offset:         16
        .size:           8
        .value_kind:     global_buffer
      - .offset:         24
        .size:           4
        .value_kind:     by_value
      - .offset:         28
        .size:           4
        .value_kind:     by_value
      - .offset:         32
        .size:           4
        .value_kind:     by_value
      - .offset:         36
        .size:           4
        .value_kind:     by_value
      - .offset:         40
        .size:           1
        .value_kind:     by_value
      - .offset:         41
        .size:           1
        .value_kind:     by_value
      - .offset:         48
        .size:           4
        .value_kind:     hidden_block_count_x
      - .offset:         52
        .size:           4
        .value_kind:     hidden_block_count_y
      - .offset:         56
        .size:           4
        .value_kind:     hidden_block_count_z
      - .offset:         60
        .size:           2
        .value_kind:     hidden_group_size_x
      - .offset:         62
        .size:           2
        .value_kind:     hidden_group_size_y
      - .offset:         64
        .size:           2
        .value_kind:     hidden_group_size_z
      - .offset:         66
        .size:           2
        .value_kind:     hidden_remainder_x
      - .offset:         68
        .size:           2
        .value_kind:     hidden_remainder_y
      - .offset:         70
        .size:           2
        .value_kind:     hidden_remainder_z
      - .offset:         88
        .size:           8
        .value_kind:     hidden_global_offset_x
      - .offset:         96
        .size:           8
        .value_kind:     hidden_global_offset_y
      - .offset:         104
        .size:           8
        .value_kind:     hidden_global_offset_z
      - .offset:         112
        .size:           2
        .value_kind:     hidden_grid_dims
      - .offset:         168
        .size:           4
        .value_kind:     hidden_dynamic_lds_size
    .group_segment_fixed_size: 0
    .kernarg_segment_align: 8
    .kernarg_segment_size: 304
    .language:       OpenCL C
    .language_version:
      - 2
      - 0
    .max_flat_workgroup_size: 1024
    .name:           _ZN2at6native45tensor_kernel_scan_innermost_dim_with_indicesIbSt13greater_equalIbEEEvPKT_PS4_PliijjS4_T0_
    .private_segment_fixed_size: 0
    .sgpr_count:     24
    .sgpr_spill_count: 0
    .symbol:         _ZN2at6native45tensor_kernel_scan_innermost_dim_with_indicesIbSt13greater_equalIbEEEvPKT_PS4_PliijjS4_T0_.kd
    .uniform_work_group_size: 1
    .uses_dynamic_stack: false
    .vgpr_count:     28
    .vgpr_spill_count: 0
    .wavefront_size: 32
    .workgroup_processor_mode: 1
  - .args:
      - .address_space:  global
        .offset:         0
        .size:           8
        .value_kind:     global_buffer
      - .address_space:  global
        .offset:         8
        .size:           8
        .value_kind:     global_buffer
      - .address_space:  global
        .offset:         16
        .size:           8
        .value_kind:     global_buffer
      - .offset:         24
        .size:           4
        .value_kind:     by_value
      - .offset:         28
        .size:           4
        .value_kind:     by_value
      - .offset:         32
        .size:           4
        .value_kind:     by_value
      - .offset:         36
        .size:           1
        .value_kind:     by_value
      - .offset:         37
        .size:           1
        .value_kind:     by_value
      - .offset:         40
        .size:           4
        .value_kind:     hidden_block_count_x
      - .offset:         44
        .size:           4
        .value_kind:     hidden_block_count_y
      - .offset:         48
        .size:           4
        .value_kind:     hidden_block_count_z
      - .offset:         52
        .size:           2
        .value_kind:     hidden_group_size_x
      - .offset:         54
        .size:           2
        .value_kind:     hidden_group_size_y
      - .offset:         56
        .size:           2
        .value_kind:     hidden_group_size_z
      - .offset:         58
        .size:           2
        .value_kind:     hidden_remainder_x
      - .offset:         60
        .size:           2
        .value_kind:     hidden_remainder_y
      - .offset:         62
        .size:           2
        .value_kind:     hidden_remainder_z
      - .offset:         80
        .size:           8
        .value_kind:     hidden_global_offset_x
      - .offset:         88
        .size:           8
        .value_kind:     hidden_global_offset_y
      - .offset:         96
        .size:           8
        .value_kind:     hidden_global_offset_z
      - .offset:         104
        .size:           2
        .value_kind:     hidden_grid_dims
    .group_segment_fixed_size: 0
    .kernarg_segment_align: 8
    .kernarg_segment_size: 296
    .language:       OpenCL C
    .language_version:
      - 2
      - 0
    .max_flat_workgroup_size: 1024
    .name:           _ZN2at6native41tensor_kernel_scan_outer_dim_with_indicesIbSt13greater_equalIbEEEvPKT_PS4_PljjjS4_T0_
    .private_segment_fixed_size: 0
    .sgpr_count:     32
    .sgpr_spill_count: 0
    .symbol:         _ZN2at6native41tensor_kernel_scan_outer_dim_with_indicesIbSt13greater_equalIbEEEvPKT_PS4_PljjjS4_T0_.kd
    .uniform_work_group_size: 1
    .uses_dynamic_stack: false
    .vgpr_count:     13
    .vgpr_spill_count: 0
    .wavefront_size: 32
    .workgroup_processor_mode: 1
  - .args:
      - .address_space:  global
        .offset:         0
        .size:           8
        .value_kind:     global_buffer
      - .address_space:  global
        .offset:         8
        .size:           8
        .value_kind:     global_buffer
      - .address_space:  global
        .offset:         16
        .size:           8
        .value_kind:     global_buffer
      - .offset:         24
        .size:           4
        .value_kind:     by_value
      - .offset:         28
        .size:           4
        .value_kind:     by_value
      - .offset:         32
        .size:           4
        .value_kind:     by_value
      - .offset:         36
        .size:           4
        .value_kind:     by_value
      - .offset:         40
        .size:           2
        .value_kind:     by_value
      - .offset:         42
        .size:           1
        .value_kind:     by_value
      - .offset:         48
        .size:           4
        .value_kind:     hidden_block_count_x
      - .offset:         52
        .size:           4
        .value_kind:     hidden_block_count_y
      - .offset:         56
        .size:           4
        .value_kind:     hidden_block_count_z
      - .offset:         60
        .size:           2
        .value_kind:     hidden_group_size_x
      - .offset:         62
        .size:           2
        .value_kind:     hidden_group_size_y
      - .offset:         64
        .size:           2
        .value_kind:     hidden_group_size_z
      - .offset:         66
        .size:           2
        .value_kind:     hidden_remainder_x
      - .offset:         68
        .size:           2
        .value_kind:     hidden_remainder_y
      - .offset:         70
        .size:           2
        .value_kind:     hidden_remainder_z
      - .offset:         88
        .size:           8
        .value_kind:     hidden_global_offset_x
      - .offset:         96
        .size:           8
        .value_kind:     hidden_global_offset_y
      - .offset:         104
        .size:           8
        .value_kind:     hidden_global_offset_z
      - .offset:         112
        .size:           2
        .value_kind:     hidden_grid_dims
      - .offset:         168
        .size:           4
        .value_kind:     hidden_dynamic_lds_size
    .group_segment_fixed_size: 0
    .kernarg_segment_align: 8
    .kernarg_segment_size: 304
    .language:       OpenCL C
    .language_version:
      - 2
      - 0
    .max_flat_workgroup_size: 1024
    .name:           _ZN2at6native45tensor_kernel_scan_innermost_dim_with_indicesIN3c104HalfESt13greater_equalIS3_EEEvPKT_PS6_PliijjS6_T0_
    .private_segment_fixed_size: 0
    .sgpr_count:     23
    .sgpr_spill_count: 0
    .symbol:         _ZN2at6native45tensor_kernel_scan_innermost_dim_with_indicesIN3c104HalfESt13greater_equalIS3_EEEvPKT_PS6_PliijjS6_T0_.kd
    .uniform_work_group_size: 1
    .uses_dynamic_stack: false
    .vgpr_count:     25
    .vgpr_spill_count: 0
    .wavefront_size: 32
    .workgroup_processor_mode: 1
  - .args:
      - .address_space:  global
        .offset:         0
        .size:           8
        .value_kind:     global_buffer
      - .address_space:  global
        .offset:         8
        .size:           8
        .value_kind:     global_buffer
      - .address_space:  global
        .offset:         16
        .size:           8
        .value_kind:     global_buffer
      - .offset:         24
        .size:           4
        .value_kind:     by_value
      - .offset:         28
        .size:           4
        .value_kind:     by_value
      - .offset:         32
        .size:           4
        .value_kind:     by_value
      - .offset:         36
        .size:           2
        .value_kind:     by_value
      - .offset:         38
        .size:           1
        .value_kind:     by_value
      - .offset:         40
        .size:           4
        .value_kind:     hidden_block_count_x
      - .offset:         44
        .size:           4
        .value_kind:     hidden_block_count_y
      - .offset:         48
        .size:           4
        .value_kind:     hidden_block_count_z
      - .offset:         52
        .size:           2
        .value_kind:     hidden_group_size_x
      - .offset:         54
        .size:           2
        .value_kind:     hidden_group_size_y
      - .offset:         56
        .size:           2
        .value_kind:     hidden_group_size_z
      - .offset:         58
        .size:           2
        .value_kind:     hidden_remainder_x
      - .offset:         60
        .size:           2
        .value_kind:     hidden_remainder_y
      - .offset:         62
        .size:           2
        .value_kind:     hidden_remainder_z
      - .offset:         80
        .size:           8
        .value_kind:     hidden_global_offset_x
      - .offset:         88
        .size:           8
        .value_kind:     hidden_global_offset_y
      - .offset:         96
        .size:           8
        .value_kind:     hidden_global_offset_z
      - .offset:         104
        .size:           2
        .value_kind:     hidden_grid_dims
    .group_segment_fixed_size: 0
    .kernarg_segment_align: 8
    .kernarg_segment_size: 296
    .language:       OpenCL C
    .language_version:
      - 2
      - 0
    .max_flat_workgroup_size: 1024
    .name:           _ZN2at6native41tensor_kernel_scan_outer_dim_with_indicesIN3c104HalfESt13greater_equalIS3_EEEvPKT_PS6_PljjjS6_T0_
    .private_segment_fixed_size: 0
    .sgpr_count:     37
    .sgpr_spill_count: 0
    .symbol:         _ZN2at6native41tensor_kernel_scan_outer_dim_with_indicesIN3c104HalfESt13greater_equalIS3_EEEvPKT_PS6_PljjjS6_T0_.kd
    .uniform_work_group_size: 1
    .uses_dynamic_stack: false
    .vgpr_count:     13
    .vgpr_spill_count: 0
    .wavefront_size: 32
    .workgroup_processor_mode: 1
  - .args:
      - .address_space:  global
        .offset:         0
        .size:           8
        .value_kind:     global_buffer
      - .address_space:  global
        .offset:         8
        .size:           8
        .value_kind:     global_buffer
      - .address_space:  global
        .offset:         16
        .size:           8
        .value_kind:     global_buffer
      - .offset:         24
        .size:           4
        .value_kind:     by_value
      - .offset:         28
        .size:           4
        .value_kind:     by_value
      - .offset:         32
        .size:           4
        .value_kind:     by_value
      - .offset:         36
        .size:           4
        .value_kind:     by_value
      - .offset:         40
        .size:           2
        .value_kind:     by_value
      - .offset:         42
        .size:           1
        .value_kind:     by_value
      - .offset:         48
        .size:           4
        .value_kind:     hidden_block_count_x
      - .offset:         52
        .size:           4
        .value_kind:     hidden_block_count_y
      - .offset:         56
        .size:           4
        .value_kind:     hidden_block_count_z
      - .offset:         60
        .size:           2
        .value_kind:     hidden_group_size_x
      - .offset:         62
        .size:           2
        .value_kind:     hidden_group_size_y
      - .offset:         64
        .size:           2
        .value_kind:     hidden_group_size_z
      - .offset:         66
        .size:           2
        .value_kind:     hidden_remainder_x
      - .offset:         68
        .size:           2
        .value_kind:     hidden_remainder_y
      - .offset:         70
        .size:           2
        .value_kind:     hidden_remainder_z
      - .offset:         88
        .size:           8
        .value_kind:     hidden_global_offset_x
      - .offset:         96
        .size:           8
        .value_kind:     hidden_global_offset_y
      - .offset:         104
        .size:           8
        .value_kind:     hidden_global_offset_z
      - .offset:         112
        .size:           2
        .value_kind:     hidden_grid_dims
      - .offset:         168
        .size:           4
        .value_kind:     hidden_dynamic_lds_size
    .group_segment_fixed_size: 0
    .kernarg_segment_align: 8
    .kernarg_segment_size: 304
    .language:       OpenCL C
    .language_version:
      - 2
      - 0
    .max_flat_workgroup_size: 1024
    .name:           _ZN2at6native45tensor_kernel_scan_innermost_dim_with_indicesIN3c108BFloat16ESt13greater_equalIS3_EEEvPKT_PS6_PliijjS6_T0_
    .private_segment_fixed_size: 0
    .sgpr_count:     23
    .sgpr_spill_count: 0
    .symbol:         _ZN2at6native45tensor_kernel_scan_innermost_dim_with_indicesIN3c108BFloat16ESt13greater_equalIS3_EEEvPKT_PS6_PliijjS6_T0_.kd
    .uniform_work_group_size: 1
    .uses_dynamic_stack: false
    .vgpr_count:     25
    .vgpr_spill_count: 0
    .wavefront_size: 32
    .workgroup_processor_mode: 1
  - .args:
      - .address_space:  global
        .offset:         0
        .size:           8
        .value_kind:     global_buffer
      - .address_space:  global
        .offset:         8
        .size:           8
        .value_kind:     global_buffer
      - .address_space:  global
        .offset:         16
        .size:           8
        .value_kind:     global_buffer
      - .offset:         24
        .size:           4
        .value_kind:     by_value
      - .offset:         28
        .size:           4
        .value_kind:     by_value
      - .offset:         32
        .size:           4
        .value_kind:     by_value
      - .offset:         36
        .size:           2
        .value_kind:     by_value
      - .offset:         38
        .size:           1
        .value_kind:     by_value
      - .offset:         40
        .size:           4
        .value_kind:     hidden_block_count_x
      - .offset:         44
        .size:           4
        .value_kind:     hidden_block_count_y
      - .offset:         48
        .size:           4
        .value_kind:     hidden_block_count_z
      - .offset:         52
        .size:           2
        .value_kind:     hidden_group_size_x
      - .offset:         54
        .size:           2
        .value_kind:     hidden_group_size_y
      - .offset:         56
        .size:           2
        .value_kind:     hidden_group_size_z
      - .offset:         58
        .size:           2
        .value_kind:     hidden_remainder_x
      - .offset:         60
        .size:           2
        .value_kind:     hidden_remainder_y
      - .offset:         62
        .size:           2
        .value_kind:     hidden_remainder_z
      - .offset:         80
        .size:           8
        .value_kind:     hidden_global_offset_x
      - .offset:         88
        .size:           8
        .value_kind:     hidden_global_offset_y
      - .offset:         96
        .size:           8
        .value_kind:     hidden_global_offset_z
      - .offset:         104
        .size:           2
        .value_kind:     hidden_grid_dims
    .group_segment_fixed_size: 0
    .kernarg_segment_align: 8
    .kernarg_segment_size: 296
    .language:       OpenCL C
    .language_version:
      - 2
      - 0
    .max_flat_workgroup_size: 1024
    .name:           _ZN2at6native41tensor_kernel_scan_outer_dim_with_indicesIN3c108BFloat16ESt13greater_equalIS3_EEEvPKT_PS6_PljjjS6_T0_
    .private_segment_fixed_size: 0
    .sgpr_count:     39
    .sgpr_spill_count: 0
    .symbol:         _ZN2at6native41tensor_kernel_scan_outer_dim_with_indicesIN3c108BFloat16ESt13greater_equalIS3_EEEvPKT_PS6_PljjjS6_T0_.kd
    .uniform_work_group_size: 1
    .uses_dynamic_stack: false
    .vgpr_count:     13
    .vgpr_spill_count: 0
    .wavefront_size: 32
    .workgroup_processor_mode: 1
  - .args:
      - .address_space:  global
        .offset:         0
        .size:           8
        .value_kind:     global_buffer
      - .address_space:  global
        .offset:         8
        .size:           8
        .value_kind:     global_buffer
      - .address_space:  global
        .offset:         16
        .size:           8
        .value_kind:     global_buffer
      - .offset:         24
        .size:           4
        .value_kind:     by_value
      - .offset:         28
        .size:           4
        .value_kind:     by_value
      - .offset:         32
        .size:           4
        .value_kind:     by_value
      - .offset:         36
        .size:           4
        .value_kind:     by_value
      - .offset:         40
        .size:           1
        .value_kind:     by_value
      - .offset:         41
        .size:           1
        .value_kind:     by_value
      - .offset:         48
        .size:           4
        .value_kind:     hidden_block_count_x
      - .offset:         52
        .size:           4
        .value_kind:     hidden_block_count_y
      - .offset:         56
        .size:           4
        .value_kind:     hidden_block_count_z
      - .offset:         60
        .size:           2
        .value_kind:     hidden_group_size_x
      - .offset:         62
        .size:           2
        .value_kind:     hidden_group_size_y
      - .offset:         64
        .size:           2
        .value_kind:     hidden_group_size_z
      - .offset:         66
        .size:           2
        .value_kind:     hidden_remainder_x
      - .offset:         68
        .size:           2
        .value_kind:     hidden_remainder_y
      - .offset:         70
        .size:           2
        .value_kind:     hidden_remainder_z
      - .offset:         88
        .size:           8
        .value_kind:     hidden_global_offset_x
      - .offset:         96
        .size:           8
        .value_kind:     hidden_global_offset_y
      - .offset:         104
        .size:           8
        .value_kind:     hidden_global_offset_z
      - .offset:         112
        .size:           2
        .value_kind:     hidden_grid_dims
      - .offset:         168
        .size:           4
        .value_kind:     hidden_dynamic_lds_size
    .group_segment_fixed_size: 0
    .kernarg_segment_align: 8
    .kernarg_segment_size: 304
    .language:       OpenCL C
    .language_version:
      - 2
      - 0
    .max_flat_workgroup_size: 1024
    .name:           _ZN2at6native45tensor_kernel_scan_innermost_dim_with_indicesIhSt10less_equalIhEEEvPKT_PS4_PliijjS4_T0_
    .private_segment_fixed_size: 0
    .sgpr_count:     23
    .sgpr_spill_count: 0
    .symbol:         _ZN2at6native45tensor_kernel_scan_innermost_dim_with_indicesIhSt10less_equalIhEEEvPKT_PS4_PliijjS4_T0_.kd
    .uniform_work_group_size: 1
    .uses_dynamic_stack: false
    .vgpr_count:     27
    .vgpr_spill_count: 0
    .wavefront_size: 32
    .workgroup_processor_mode: 1
  - .args:
      - .address_space:  global
        .offset:         0
        .size:           8
        .value_kind:     global_buffer
      - .address_space:  global
        .offset:         8
        .size:           8
        .value_kind:     global_buffer
      - .address_space:  global
        .offset:         16
        .size:           8
        .value_kind:     global_buffer
      - .offset:         24
        .size:           4
        .value_kind:     by_value
      - .offset:         28
        .size:           4
        .value_kind:     by_value
      - .offset:         32
        .size:           4
        .value_kind:     by_value
      - .offset:         36
        .size:           1
        .value_kind:     by_value
      - .offset:         37
        .size:           1
        .value_kind:     by_value
      - .offset:         40
        .size:           4
        .value_kind:     hidden_block_count_x
      - .offset:         44
        .size:           4
        .value_kind:     hidden_block_count_y
      - .offset:         48
        .size:           4
        .value_kind:     hidden_block_count_z
      - .offset:         52
        .size:           2
        .value_kind:     hidden_group_size_x
      - .offset:         54
        .size:           2
        .value_kind:     hidden_group_size_y
      - .offset:         56
        .size:           2
        .value_kind:     hidden_group_size_z
      - .offset:         58
        .size:           2
        .value_kind:     hidden_remainder_x
      - .offset:         60
        .size:           2
        .value_kind:     hidden_remainder_y
      - .offset:         62
        .size:           2
        .value_kind:     hidden_remainder_z
      - .offset:         80
        .size:           8
        .value_kind:     hidden_global_offset_x
      - .offset:         88
        .size:           8
        .value_kind:     hidden_global_offset_y
      - .offset:         96
        .size:           8
        .value_kind:     hidden_global_offset_z
      - .offset:         104
        .size:           2
        .value_kind:     hidden_grid_dims
    .group_segment_fixed_size: 0
    .kernarg_segment_align: 8
    .kernarg_segment_size: 296
    .language:       OpenCL C
    .language_version:
      - 2
      - 0
    .max_flat_workgroup_size: 1024
    .name:           _ZN2at6native41tensor_kernel_scan_outer_dim_with_indicesIhSt10less_equalIhEEEvPKT_PS4_PljjjS4_T0_
    .private_segment_fixed_size: 0
    .sgpr_count:     32
    .sgpr_spill_count: 0
    .symbol:         _ZN2at6native41tensor_kernel_scan_outer_dim_with_indicesIhSt10less_equalIhEEEvPKT_PS4_PljjjS4_T0_.kd
    .uniform_work_group_size: 1
    .uses_dynamic_stack: false
    .vgpr_count:     13
    .vgpr_spill_count: 0
    .wavefront_size: 32
    .workgroup_processor_mode: 1
  - .args:
      - .address_space:  global
        .offset:         0
        .size:           8
        .value_kind:     global_buffer
      - .address_space:  global
        .offset:         8
        .size:           8
        .value_kind:     global_buffer
      - .address_space:  global
        .offset:         16
        .size:           8
        .value_kind:     global_buffer
      - .offset:         24
        .size:           4
        .value_kind:     by_value
      - .offset:         28
        .size:           4
        .value_kind:     by_value
      - .offset:         32
        .size:           4
        .value_kind:     by_value
      - .offset:         36
        .size:           4
        .value_kind:     by_value
      - .offset:         40
        .size:           1
        .value_kind:     by_value
      - .offset:         41
        .size:           1
        .value_kind:     by_value
      - .offset:         48
        .size:           4
        .value_kind:     hidden_block_count_x
      - .offset:         52
        .size:           4
        .value_kind:     hidden_block_count_y
      - .offset:         56
        .size:           4
        .value_kind:     hidden_block_count_z
      - .offset:         60
        .size:           2
        .value_kind:     hidden_group_size_x
      - .offset:         62
        .size:           2
        .value_kind:     hidden_group_size_y
      - .offset:         64
        .size:           2
        .value_kind:     hidden_group_size_z
      - .offset:         66
        .size:           2
        .value_kind:     hidden_remainder_x
      - .offset:         68
        .size:           2
        .value_kind:     hidden_remainder_y
      - .offset:         70
        .size:           2
        .value_kind:     hidden_remainder_z
      - .offset:         88
        .size:           8
        .value_kind:     hidden_global_offset_x
      - .offset:         96
        .size:           8
        .value_kind:     hidden_global_offset_y
      - .offset:         104
        .size:           8
        .value_kind:     hidden_global_offset_z
      - .offset:         112
        .size:           2
        .value_kind:     hidden_grid_dims
      - .offset:         168
        .size:           4
        .value_kind:     hidden_dynamic_lds_size
    .group_segment_fixed_size: 0
    .kernarg_segment_align: 8
    .kernarg_segment_size: 304
    .language:       OpenCL C
    .language_version:
      - 2
      - 0
    .max_flat_workgroup_size: 1024
    .name:           _ZN2at6native45tensor_kernel_scan_innermost_dim_with_indicesIaSt10less_equalIaEEEvPKT_PS4_PliijjS4_T0_
    .private_segment_fixed_size: 0
    .sgpr_count:     23
    .sgpr_spill_count: 0
    .symbol:         _ZN2at6native45tensor_kernel_scan_innermost_dim_with_indicesIaSt10less_equalIaEEEvPKT_PS4_PliijjS4_T0_.kd
    .uniform_work_group_size: 1
    .uses_dynamic_stack: false
    .vgpr_count:     27
    .vgpr_spill_count: 0
    .wavefront_size: 32
    .workgroup_processor_mode: 1
  - .args:
      - .address_space:  global
        .offset:         0
        .size:           8
        .value_kind:     global_buffer
      - .address_space:  global
        .offset:         8
        .size:           8
        .value_kind:     global_buffer
      - .address_space:  global
        .offset:         16
        .size:           8
        .value_kind:     global_buffer
      - .offset:         24
        .size:           4
        .value_kind:     by_value
      - .offset:         28
        .size:           4
        .value_kind:     by_value
      - .offset:         32
        .size:           4
        .value_kind:     by_value
      - .offset:         36
        .size:           1
        .value_kind:     by_value
      - .offset:         37
        .size:           1
        .value_kind:     by_value
      - .offset:         40
        .size:           4
        .value_kind:     hidden_block_count_x
      - .offset:         44
        .size:           4
        .value_kind:     hidden_block_count_y
      - .offset:         48
        .size:           4
        .value_kind:     hidden_block_count_z
      - .offset:         52
        .size:           2
        .value_kind:     hidden_group_size_x
      - .offset:         54
        .size:           2
        .value_kind:     hidden_group_size_y
      - .offset:         56
        .size:           2
        .value_kind:     hidden_group_size_z
      - .offset:         58
        .size:           2
        .value_kind:     hidden_remainder_x
      - .offset:         60
        .size:           2
        .value_kind:     hidden_remainder_y
      - .offset:         62
        .size:           2
        .value_kind:     hidden_remainder_z
      - .offset:         80
        .size:           8
        .value_kind:     hidden_global_offset_x
      - .offset:         88
        .size:           8
        .value_kind:     hidden_global_offset_y
      - .offset:         96
        .size:           8
        .value_kind:     hidden_global_offset_z
      - .offset:         104
        .size:           2
        .value_kind:     hidden_grid_dims
    .group_segment_fixed_size: 0
    .kernarg_segment_align: 8
    .kernarg_segment_size: 296
    .language:       OpenCL C
    .language_version:
      - 2
      - 0
    .max_flat_workgroup_size: 1024
    .name:           _ZN2at6native41tensor_kernel_scan_outer_dim_with_indicesIaSt10less_equalIaEEEvPKT_PS4_PljjjS4_T0_
    .private_segment_fixed_size: 0
    .sgpr_count:     32
    .sgpr_spill_count: 0
    .symbol:         _ZN2at6native41tensor_kernel_scan_outer_dim_with_indicesIaSt10less_equalIaEEEvPKT_PS4_PljjjS4_T0_.kd
    .uniform_work_group_size: 1
    .uses_dynamic_stack: false
    .vgpr_count:     13
    .vgpr_spill_count: 0
    .wavefront_size: 32
    .workgroup_processor_mode: 1
  - .args:
      - .address_space:  global
        .offset:         0
        .size:           8
        .value_kind:     global_buffer
      - .address_space:  global
        .offset:         8
        .size:           8
        .value_kind:     global_buffer
      - .address_space:  global
        .offset:         16
        .size:           8
        .value_kind:     global_buffer
      - .offset:         24
        .size:           4
        .value_kind:     by_value
      - .offset:         28
        .size:           4
        .value_kind:     by_value
      - .offset:         32
        .size:           4
        .value_kind:     by_value
      - .offset:         36
        .size:           4
        .value_kind:     by_value
      - .offset:         40
        .size:           4
        .value_kind:     by_value
      - .offset:         44
        .size:           1
        .value_kind:     by_value
      - .offset:         48
        .size:           4
        .value_kind:     hidden_block_count_x
      - .offset:         52
        .size:           4
        .value_kind:     hidden_block_count_y
      - .offset:         56
        .size:           4
        .value_kind:     hidden_block_count_z
      - .offset:         60
        .size:           2
        .value_kind:     hidden_group_size_x
      - .offset:         62
        .size:           2
        .value_kind:     hidden_group_size_y
      - .offset:         64
        .size:           2
        .value_kind:     hidden_group_size_z
      - .offset:         66
        .size:           2
        .value_kind:     hidden_remainder_x
      - .offset:         68
        .size:           2
        .value_kind:     hidden_remainder_y
      - .offset:         70
        .size:           2
        .value_kind:     hidden_remainder_z
      - .offset:         88
        .size:           8
        .value_kind:     hidden_global_offset_x
      - .offset:         96
        .size:           8
        .value_kind:     hidden_global_offset_y
      - .offset:         104
        .size:           8
        .value_kind:     hidden_global_offset_z
      - .offset:         112
        .size:           2
        .value_kind:     hidden_grid_dims
      - .offset:         168
        .size:           4
        .value_kind:     hidden_dynamic_lds_size
    .group_segment_fixed_size: 0
    .kernarg_segment_align: 8
    .kernarg_segment_size: 304
    .language:       OpenCL C
    .language_version:
      - 2
      - 0
    .max_flat_workgroup_size: 1024
    .name:           _ZN2at6native45tensor_kernel_scan_innermost_dim_with_indicesIiSt10less_equalIiEEEvPKT_PS4_PliijjS4_T0_
    .private_segment_fixed_size: 0
    .sgpr_count:     23
    .sgpr_spill_count: 0
    .symbol:         _ZN2at6native45tensor_kernel_scan_innermost_dim_with_indicesIiSt10less_equalIiEEEvPKT_PS4_PliijjS4_T0_.kd
    .uniform_work_group_size: 1
    .uses_dynamic_stack: false
    .vgpr_count:     25
    .vgpr_spill_count: 0
    .wavefront_size: 32
    .workgroup_processor_mode: 1
  - .args:
      - .address_space:  global
        .offset:         0
        .size:           8
        .value_kind:     global_buffer
      - .address_space:  global
        .offset:         8
        .size:           8
        .value_kind:     global_buffer
      - .address_space:  global
        .offset:         16
        .size:           8
        .value_kind:     global_buffer
      - .offset:         24
        .size:           4
        .value_kind:     by_value
      - .offset:         28
        .size:           4
        .value_kind:     by_value
      - .offset:         32
        .size:           4
        .value_kind:     by_value
      - .offset:         36
        .size:           4
        .value_kind:     by_value
      - .offset:         40
        .size:           1
        .value_kind:     by_value
      - .offset:         48
        .size:           4
        .value_kind:     hidden_block_count_x
      - .offset:         52
        .size:           4
        .value_kind:     hidden_block_count_y
      - .offset:         56
        .size:           4
        .value_kind:     hidden_block_count_z
      - .offset:         60
        .size:           2
        .value_kind:     hidden_group_size_x
      - .offset:         62
        .size:           2
        .value_kind:     hidden_group_size_y
      - .offset:         64
        .size:           2
        .value_kind:     hidden_group_size_z
      - .offset:         66
        .size:           2
        .value_kind:     hidden_remainder_x
      - .offset:         68
        .size:           2
        .value_kind:     hidden_remainder_y
      - .offset:         70
        .size:           2
        .value_kind:     hidden_remainder_z
      - .offset:         88
        .size:           8
        .value_kind:     hidden_global_offset_x
      - .offset:         96
        .size:           8
        .value_kind:     hidden_global_offset_y
      - .offset:         104
        .size:           8
        .value_kind:     hidden_global_offset_z
      - .offset:         112
        .size:           2
        .value_kind:     hidden_grid_dims
    .group_segment_fixed_size: 0
    .kernarg_segment_align: 8
    .kernarg_segment_size: 304
    .language:       OpenCL C
    .language_version:
      - 2
      - 0
    .max_flat_workgroup_size: 1024
    .name:           _ZN2at6native41tensor_kernel_scan_outer_dim_with_indicesIiSt10less_equalIiEEEvPKT_PS4_PljjjS4_T0_
    .private_segment_fixed_size: 0
    .sgpr_count:     36
    .sgpr_spill_count: 0
    .symbol:         _ZN2at6native41tensor_kernel_scan_outer_dim_with_indicesIiSt10less_equalIiEEEvPKT_PS4_PljjjS4_T0_.kd
    .uniform_work_group_size: 1
    .uses_dynamic_stack: false
    .vgpr_count:     13
    .vgpr_spill_count: 0
    .wavefront_size: 32
    .workgroup_processor_mode: 1
  - .args:
      - .address_space:  global
        .offset:         0
        .size:           8
        .value_kind:     global_buffer
      - .address_space:  global
        .offset:         8
        .size:           8
        .value_kind:     global_buffer
      - .address_space:  global
        .offset:         16
        .size:           8
        .value_kind:     global_buffer
      - .offset:         24
        .size:           4
        .value_kind:     by_value
      - .offset:         28
        .size:           4
        .value_kind:     by_value
      - .offset:         32
        .size:           4
        .value_kind:     by_value
      - .offset:         36
        .size:           4
        .value_kind:     by_value
      - .offset:         40
        .size:           8
        .value_kind:     by_value
      - .offset:         48
        .size:           1
        .value_kind:     by_value
      - .offset:         56
        .size:           4
        .value_kind:     hidden_block_count_x
      - .offset:         60
        .size:           4
        .value_kind:     hidden_block_count_y
      - .offset:         64
        .size:           4
        .value_kind:     hidden_block_count_z
      - .offset:         68
        .size:           2
        .value_kind:     hidden_group_size_x
      - .offset:         70
        .size:           2
        .value_kind:     hidden_group_size_y
      - .offset:         72
        .size:           2
        .value_kind:     hidden_group_size_z
      - .offset:         74
        .size:           2
        .value_kind:     hidden_remainder_x
      - .offset:         76
        .size:           2
        .value_kind:     hidden_remainder_y
      - .offset:         78
        .size:           2
        .value_kind:     hidden_remainder_z
      - .offset:         96
        .size:           8
        .value_kind:     hidden_global_offset_x
      - .offset:         104
        .size:           8
        .value_kind:     hidden_global_offset_y
      - .offset:         112
        .size:           8
        .value_kind:     hidden_global_offset_z
      - .offset:         120
        .size:           2
        .value_kind:     hidden_grid_dims
      - .offset:         176
        .size:           4
        .value_kind:     hidden_dynamic_lds_size
    .group_segment_fixed_size: 0
    .kernarg_segment_align: 8
    .kernarg_segment_size: 312
    .language:       OpenCL C
    .language_version:
      - 2
      - 0
    .max_flat_workgroup_size: 1024
    .name:           _ZN2at6native45tensor_kernel_scan_innermost_dim_with_indicesIlSt10less_equalIlEEEvPKT_PS4_PliijjS4_T0_
    .private_segment_fixed_size: 0
    .sgpr_count:     24
    .sgpr_spill_count: 0
    .symbol:         _ZN2at6native45tensor_kernel_scan_innermost_dim_with_indicesIlSt10less_equalIlEEEvPKT_PS4_PliijjS4_T0_.kd
    .uniform_work_group_size: 1
    .uses_dynamic_stack: false
    .vgpr_count:     26
    .vgpr_spill_count: 0
    .wavefront_size: 32
    .workgroup_processor_mode: 1
  - .args:
      - .address_space:  global
        .offset:         0
        .size:           8
        .value_kind:     global_buffer
      - .address_space:  global
        .offset:         8
        .size:           8
        .value_kind:     global_buffer
      - .address_space:  global
        .offset:         16
        .size:           8
        .value_kind:     global_buffer
      - .offset:         24
        .size:           4
        .value_kind:     by_value
      - .offset:         28
        .size:           4
        .value_kind:     by_value
      - .offset:         32
        .size:           4
        .value_kind:     by_value
      - .offset:         40
        .size:           8
        .value_kind:     by_value
      - .offset:         48
        .size:           1
        .value_kind:     by_value
      - .offset:         56
        .size:           4
        .value_kind:     hidden_block_count_x
      - .offset:         60
        .size:           4
        .value_kind:     hidden_block_count_y
      - .offset:         64
        .size:           4
        .value_kind:     hidden_block_count_z
      - .offset:         68
        .size:           2
        .value_kind:     hidden_group_size_x
      - .offset:         70
        .size:           2
        .value_kind:     hidden_group_size_y
      - .offset:         72
        .size:           2
        .value_kind:     hidden_group_size_z
      - .offset:         74
        .size:           2
        .value_kind:     hidden_remainder_x
      - .offset:         76
        .size:           2
        .value_kind:     hidden_remainder_y
      - .offset:         78
        .size:           2
        .value_kind:     hidden_remainder_z
      - .offset:         96
        .size:           8
        .value_kind:     hidden_global_offset_x
      - .offset:         104
        .size:           8
        .value_kind:     hidden_global_offset_y
      - .offset:         112
        .size:           8
        .value_kind:     hidden_global_offset_z
      - .offset:         120
        .size:           2
        .value_kind:     hidden_grid_dims
    .group_segment_fixed_size: 0
    .kernarg_segment_align: 8
    .kernarg_segment_size: 312
    .language:       OpenCL C
    .language_version:
      - 2
      - 0
    .max_flat_workgroup_size: 1024
    .name:           _ZN2at6native41tensor_kernel_scan_outer_dim_with_indicesIlSt10less_equalIlEEEvPKT_PS4_PljjjS4_T0_
    .private_segment_fixed_size: 0
    .sgpr_count:     34
    .sgpr_spill_count: 0
    .symbol:         _ZN2at6native41tensor_kernel_scan_outer_dim_with_indicesIlSt10less_equalIlEEEvPKT_PS4_PljjjS4_T0_.kd
    .uniform_work_group_size: 1
    .uses_dynamic_stack: false
    .vgpr_count:     15
    .vgpr_spill_count: 0
    .wavefront_size: 32
    .workgroup_processor_mode: 1
  - .args:
      - .address_space:  global
        .offset:         0
        .size:           8
        .value_kind:     global_buffer
      - .address_space:  global
        .offset:         8
        .size:           8
        .value_kind:     global_buffer
      - .address_space:  global
        .offset:         16
        .size:           8
        .value_kind:     global_buffer
      - .offset:         24
        .size:           4
        .value_kind:     by_value
      - .offset:         28
        .size:           4
        .value_kind:     by_value
      - .offset:         32
        .size:           4
        .value_kind:     by_value
      - .offset:         36
        .size:           4
        .value_kind:     by_value
      - .offset:         40
        .size:           2
        .value_kind:     by_value
      - .offset:         42
        .size:           1
        .value_kind:     by_value
      - .offset:         48
        .size:           4
        .value_kind:     hidden_block_count_x
      - .offset:         52
        .size:           4
        .value_kind:     hidden_block_count_y
      - .offset:         56
        .size:           4
        .value_kind:     hidden_block_count_z
      - .offset:         60
        .size:           2
        .value_kind:     hidden_group_size_x
      - .offset:         62
        .size:           2
        .value_kind:     hidden_group_size_y
      - .offset:         64
        .size:           2
        .value_kind:     hidden_group_size_z
      - .offset:         66
        .size:           2
        .value_kind:     hidden_remainder_x
      - .offset:         68
        .size:           2
        .value_kind:     hidden_remainder_y
      - .offset:         70
        .size:           2
        .value_kind:     hidden_remainder_z
      - .offset:         88
        .size:           8
        .value_kind:     hidden_global_offset_x
      - .offset:         96
        .size:           8
        .value_kind:     hidden_global_offset_y
      - .offset:         104
        .size:           8
        .value_kind:     hidden_global_offset_z
      - .offset:         112
        .size:           2
        .value_kind:     hidden_grid_dims
      - .offset:         168
        .size:           4
        .value_kind:     hidden_dynamic_lds_size
    .group_segment_fixed_size: 0
    .kernarg_segment_align: 8
    .kernarg_segment_size: 304
    .language:       OpenCL C
    .language_version:
      - 2
      - 0
    .max_flat_workgroup_size: 1024
    .name:           _ZN2at6native45tensor_kernel_scan_innermost_dim_with_indicesIsSt10less_equalIsEEEvPKT_PS4_PliijjS4_T0_
    .private_segment_fixed_size: 0
    .sgpr_count:     23
    .sgpr_spill_count: 0
    .symbol:         _ZN2at6native45tensor_kernel_scan_innermost_dim_with_indicesIsSt10less_equalIsEEEvPKT_PS4_PliijjS4_T0_.kd
    .uniform_work_group_size: 1
    .uses_dynamic_stack: false
    .vgpr_count:     25
    .vgpr_spill_count: 0
    .wavefront_size: 32
    .workgroup_processor_mode: 1
  - .args:
      - .address_space:  global
        .offset:         0
        .size:           8
        .value_kind:     global_buffer
      - .address_space:  global
        .offset:         8
        .size:           8
        .value_kind:     global_buffer
      - .address_space:  global
        .offset:         16
        .size:           8
        .value_kind:     global_buffer
      - .offset:         24
        .size:           4
        .value_kind:     by_value
      - .offset:         28
        .size:           4
        .value_kind:     by_value
      - .offset:         32
        .size:           4
        .value_kind:     by_value
      - .offset:         36
        .size:           2
        .value_kind:     by_value
      - .offset:         38
        .size:           1
        .value_kind:     by_value
      - .offset:         40
        .size:           4
        .value_kind:     hidden_block_count_x
      - .offset:         44
        .size:           4
        .value_kind:     hidden_block_count_y
      - .offset:         48
        .size:           4
        .value_kind:     hidden_block_count_z
      - .offset:         52
        .size:           2
        .value_kind:     hidden_group_size_x
      - .offset:         54
        .size:           2
        .value_kind:     hidden_group_size_y
      - .offset:         56
        .size:           2
        .value_kind:     hidden_group_size_z
      - .offset:         58
        .size:           2
        .value_kind:     hidden_remainder_x
      - .offset:         60
        .size:           2
        .value_kind:     hidden_remainder_y
      - .offset:         62
        .size:           2
        .value_kind:     hidden_remainder_z
      - .offset:         80
        .size:           8
        .value_kind:     hidden_global_offset_x
      - .offset:         88
        .size:           8
        .value_kind:     hidden_global_offset_y
      - .offset:         96
        .size:           8
        .value_kind:     hidden_global_offset_z
      - .offset:         104
        .size:           2
        .value_kind:     hidden_grid_dims
    .group_segment_fixed_size: 0
    .kernarg_segment_align: 8
    .kernarg_segment_size: 296
    .language:       OpenCL C
    .language_version:
      - 2
      - 0
    .max_flat_workgroup_size: 1024
    .name:           _ZN2at6native41tensor_kernel_scan_outer_dim_with_indicesIsSt10less_equalIsEEEvPKT_PS4_PljjjS4_T0_
    .private_segment_fixed_size: 0
    .sgpr_count:     36
    .sgpr_spill_count: 0
    .symbol:         _ZN2at6native41tensor_kernel_scan_outer_dim_with_indicesIsSt10less_equalIsEEEvPKT_PS4_PljjjS4_T0_.kd
    .uniform_work_group_size: 1
    .uses_dynamic_stack: false
    .vgpr_count:     13
    .vgpr_spill_count: 0
    .wavefront_size: 32
    .workgroup_processor_mode: 1
  - .args:
      - .address_space:  global
        .offset:         0
        .size:           8
        .value_kind:     global_buffer
      - .address_space:  global
        .offset:         8
        .size:           8
        .value_kind:     global_buffer
      - .address_space:  global
        .offset:         16
        .size:           8
        .value_kind:     global_buffer
      - .offset:         24
        .size:           4
        .value_kind:     by_value
      - .offset:         28
        .size:           4
        .value_kind:     by_value
      - .offset:         32
        .size:           4
        .value_kind:     by_value
      - .offset:         36
        .size:           4
        .value_kind:     by_value
      - .offset:         40
        .size:           8
        .value_kind:     by_value
      - .offset:         48
        .size:           1
        .value_kind:     by_value
      - .offset:         56
        .size:           4
        .value_kind:     hidden_block_count_x
      - .offset:         60
        .size:           4
        .value_kind:     hidden_block_count_y
      - .offset:         64
        .size:           4
        .value_kind:     hidden_block_count_z
      - .offset:         68
        .size:           2
        .value_kind:     hidden_group_size_x
      - .offset:         70
        .size:           2
        .value_kind:     hidden_group_size_y
      - .offset:         72
        .size:           2
        .value_kind:     hidden_group_size_z
      - .offset:         74
        .size:           2
        .value_kind:     hidden_remainder_x
      - .offset:         76
        .size:           2
        .value_kind:     hidden_remainder_y
      - .offset:         78
        .size:           2
        .value_kind:     hidden_remainder_z
      - .offset:         96
        .size:           8
        .value_kind:     hidden_global_offset_x
      - .offset:         104
        .size:           8
        .value_kind:     hidden_global_offset_y
      - .offset:         112
        .size:           8
        .value_kind:     hidden_global_offset_z
      - .offset:         120
        .size:           2
        .value_kind:     hidden_grid_dims
      - .offset:         176
        .size:           4
        .value_kind:     hidden_dynamic_lds_size
    .group_segment_fixed_size: 0
    .kernarg_segment_align: 8
    .kernarg_segment_size: 312
    .language:       OpenCL C
    .language_version:
      - 2
      - 0
    .max_flat_workgroup_size: 1024
    .name:           _ZN2at6native45tensor_kernel_scan_innermost_dim_with_indicesIdSt10less_equalIdEEEvPKT_PS4_PliijjS4_T0_
    .private_segment_fixed_size: 0
    .sgpr_count:     24
    .sgpr_spill_count: 0
    .symbol:         _ZN2at6native45tensor_kernel_scan_innermost_dim_with_indicesIdSt10less_equalIdEEEvPKT_PS4_PliijjS4_T0_.kd
    .uniform_work_group_size: 1
    .uses_dynamic_stack: false
    .vgpr_count:     26
    .vgpr_spill_count: 0
    .wavefront_size: 32
    .workgroup_processor_mode: 1
  - .args:
      - .address_space:  global
        .offset:         0
        .size:           8
        .value_kind:     global_buffer
      - .address_space:  global
        .offset:         8
        .size:           8
        .value_kind:     global_buffer
      - .address_space:  global
        .offset:         16
        .size:           8
        .value_kind:     global_buffer
      - .offset:         24
        .size:           4
        .value_kind:     by_value
      - .offset:         28
        .size:           4
        .value_kind:     by_value
      - .offset:         32
        .size:           4
        .value_kind:     by_value
      - .offset:         40
        .size:           8
        .value_kind:     by_value
      - .offset:         48
        .size:           1
        .value_kind:     by_value
      - .offset:         56
        .size:           4
        .value_kind:     hidden_block_count_x
      - .offset:         60
        .size:           4
        .value_kind:     hidden_block_count_y
      - .offset:         64
        .size:           4
        .value_kind:     hidden_block_count_z
      - .offset:         68
        .size:           2
        .value_kind:     hidden_group_size_x
      - .offset:         70
        .size:           2
        .value_kind:     hidden_group_size_y
      - .offset:         72
        .size:           2
        .value_kind:     hidden_group_size_z
      - .offset:         74
        .size:           2
        .value_kind:     hidden_remainder_x
      - .offset:         76
        .size:           2
        .value_kind:     hidden_remainder_y
      - .offset:         78
        .size:           2
        .value_kind:     hidden_remainder_z
      - .offset:         96
        .size:           8
        .value_kind:     hidden_global_offset_x
      - .offset:         104
        .size:           8
        .value_kind:     hidden_global_offset_y
      - .offset:         112
        .size:           8
        .value_kind:     hidden_global_offset_z
      - .offset:         120
        .size:           2
        .value_kind:     hidden_grid_dims
    .group_segment_fixed_size: 0
    .kernarg_segment_align: 8
    .kernarg_segment_size: 312
    .language:       OpenCL C
    .language_version:
      - 2
      - 0
    .max_flat_workgroup_size: 1024
    .name:           _ZN2at6native41tensor_kernel_scan_outer_dim_with_indicesIdSt10less_equalIdEEEvPKT_PS4_PljjjS4_T0_
    .private_segment_fixed_size: 0
    .sgpr_count:     34
    .sgpr_spill_count: 0
    .symbol:         _ZN2at6native41tensor_kernel_scan_outer_dim_with_indicesIdSt10less_equalIdEEEvPKT_PS4_PljjjS4_T0_.kd
    .uniform_work_group_size: 1
    .uses_dynamic_stack: false
    .vgpr_count:     15
    .vgpr_spill_count: 0
    .wavefront_size: 32
    .workgroup_processor_mode: 1
  - .args:
      - .address_space:  global
        .offset:         0
        .size:           8
        .value_kind:     global_buffer
      - .address_space:  global
        .offset:         8
        .size:           8
        .value_kind:     global_buffer
      - .address_space:  global
        .offset:         16
        .size:           8
        .value_kind:     global_buffer
      - .offset:         24
        .size:           4
        .value_kind:     by_value
      - .offset:         28
        .size:           4
        .value_kind:     by_value
      - .offset:         32
        .size:           4
        .value_kind:     by_value
      - .offset:         36
        .size:           4
        .value_kind:     by_value
      - .offset:         40
        .size:           4
        .value_kind:     by_value
      - .offset:         44
        .size:           1
        .value_kind:     by_value
      - .offset:         48
        .size:           4
        .value_kind:     hidden_block_count_x
      - .offset:         52
        .size:           4
        .value_kind:     hidden_block_count_y
      - .offset:         56
        .size:           4
        .value_kind:     hidden_block_count_z
      - .offset:         60
        .size:           2
        .value_kind:     hidden_group_size_x
      - .offset:         62
        .size:           2
        .value_kind:     hidden_group_size_y
      - .offset:         64
        .size:           2
        .value_kind:     hidden_group_size_z
      - .offset:         66
        .size:           2
        .value_kind:     hidden_remainder_x
      - .offset:         68
        .size:           2
        .value_kind:     hidden_remainder_y
      - .offset:         70
        .size:           2
        .value_kind:     hidden_remainder_z
      - .offset:         88
        .size:           8
        .value_kind:     hidden_global_offset_x
      - .offset:         96
        .size:           8
        .value_kind:     hidden_global_offset_y
      - .offset:         104
        .size:           8
        .value_kind:     hidden_global_offset_z
      - .offset:         112
        .size:           2
        .value_kind:     hidden_grid_dims
      - .offset:         168
        .size:           4
        .value_kind:     hidden_dynamic_lds_size
    .group_segment_fixed_size: 0
    .kernarg_segment_align: 8
    .kernarg_segment_size: 304
    .language:       OpenCL C
    .language_version:
      - 2
      - 0
    .max_flat_workgroup_size: 1024
    .name:           _ZN2at6native45tensor_kernel_scan_innermost_dim_with_indicesIfSt10less_equalIfEEEvPKT_PS4_PliijjS4_T0_
    .private_segment_fixed_size: 0
    .sgpr_count:     23
    .sgpr_spill_count: 0
    .symbol:         _ZN2at6native45tensor_kernel_scan_innermost_dim_with_indicesIfSt10less_equalIfEEEvPKT_PS4_PliijjS4_T0_.kd
    .uniform_work_group_size: 1
    .uses_dynamic_stack: false
    .vgpr_count:     25
    .vgpr_spill_count: 0
    .wavefront_size: 32
    .workgroup_processor_mode: 1
  - .args:
      - .address_space:  global
        .offset:         0
        .size:           8
        .value_kind:     global_buffer
      - .address_space:  global
        .offset:         8
        .size:           8
        .value_kind:     global_buffer
      - .address_space:  global
        .offset:         16
        .size:           8
        .value_kind:     global_buffer
      - .offset:         24
        .size:           4
        .value_kind:     by_value
      - .offset:         28
        .size:           4
        .value_kind:     by_value
      - .offset:         32
        .size:           4
        .value_kind:     by_value
      - .offset:         36
        .size:           4
        .value_kind:     by_value
      - .offset:         40
        .size:           1
        .value_kind:     by_value
      - .offset:         48
        .size:           4
        .value_kind:     hidden_block_count_x
      - .offset:         52
        .size:           4
        .value_kind:     hidden_block_count_y
      - .offset:         56
        .size:           4
        .value_kind:     hidden_block_count_z
      - .offset:         60
        .size:           2
        .value_kind:     hidden_group_size_x
      - .offset:         62
        .size:           2
        .value_kind:     hidden_group_size_y
      - .offset:         64
        .size:           2
        .value_kind:     hidden_group_size_z
      - .offset:         66
        .size:           2
        .value_kind:     hidden_remainder_x
      - .offset:         68
        .size:           2
        .value_kind:     hidden_remainder_y
      - .offset:         70
        .size:           2
        .value_kind:     hidden_remainder_z
      - .offset:         88
        .size:           8
        .value_kind:     hidden_global_offset_x
      - .offset:         96
        .size:           8
        .value_kind:     hidden_global_offset_y
      - .offset:         104
        .size:           8
        .value_kind:     hidden_global_offset_z
      - .offset:         112
        .size:           2
        .value_kind:     hidden_grid_dims
    .group_segment_fixed_size: 0
    .kernarg_segment_align: 8
    .kernarg_segment_size: 304
    .language:       OpenCL C
    .language_version:
      - 2
      - 0
    .max_flat_workgroup_size: 1024
    .name:           _ZN2at6native41tensor_kernel_scan_outer_dim_with_indicesIfSt10less_equalIfEEEvPKT_PS4_PljjjS4_T0_
    .private_segment_fixed_size: 0
    .sgpr_count:     37
    .sgpr_spill_count: 0
    .symbol:         _ZN2at6native41tensor_kernel_scan_outer_dim_with_indicesIfSt10less_equalIfEEEvPKT_PS4_PljjjS4_T0_.kd
    .uniform_work_group_size: 1
    .uses_dynamic_stack: false
    .vgpr_count:     13
    .vgpr_spill_count: 0
    .wavefront_size: 32
    .workgroup_processor_mode: 1
  - .args:
      - .address_space:  global
        .offset:         0
        .size:           8
        .value_kind:     global_buffer
      - .address_space:  global
        .offset:         8
        .size:           8
        .value_kind:     global_buffer
      - .address_space:  global
        .offset:         16
        .size:           8
        .value_kind:     global_buffer
      - .offset:         24
        .size:           4
        .value_kind:     by_value
      - .offset:         28
        .size:           4
        .value_kind:     by_value
      - .offset:         32
        .size:           4
        .value_kind:     by_value
      - .offset:         36
        .size:           4
        .value_kind:     by_value
      - .offset:         40
        .size:           1
        .value_kind:     by_value
      - .offset:         41
        .size:           1
        .value_kind:     by_value
      - .offset:         48
        .size:           4
        .value_kind:     hidden_block_count_x
      - .offset:         52
        .size:           4
        .value_kind:     hidden_block_count_y
      - .offset:         56
        .size:           4
        .value_kind:     hidden_block_count_z
      - .offset:         60
        .size:           2
        .value_kind:     hidden_group_size_x
      - .offset:         62
        .size:           2
        .value_kind:     hidden_group_size_y
      - .offset:         64
        .size:           2
        .value_kind:     hidden_group_size_z
      - .offset:         66
        .size:           2
        .value_kind:     hidden_remainder_x
      - .offset:         68
        .size:           2
        .value_kind:     hidden_remainder_y
      - .offset:         70
        .size:           2
        .value_kind:     hidden_remainder_z
      - .offset:         88
        .size:           8
        .value_kind:     hidden_global_offset_x
      - .offset:         96
        .size:           8
        .value_kind:     hidden_global_offset_y
      - .offset:         104
        .size:           8
        .value_kind:     hidden_global_offset_z
      - .offset:         112
        .size:           2
        .value_kind:     hidden_grid_dims
      - .offset:         168
        .size:           4
        .value_kind:     hidden_dynamic_lds_size
    .group_segment_fixed_size: 0
    .kernarg_segment_align: 8
    .kernarg_segment_size: 304
    .language:       OpenCL C
    .language_version:
      - 2
      - 0
    .max_flat_workgroup_size: 1024
    .name:           _ZN2at6native45tensor_kernel_scan_innermost_dim_with_indicesIbSt10less_equalIbEEEvPKT_PS4_PliijjS4_T0_
    .private_segment_fixed_size: 0
    .sgpr_count:     24
    .sgpr_spill_count: 0
    .symbol:         _ZN2at6native45tensor_kernel_scan_innermost_dim_with_indicesIbSt10less_equalIbEEEvPKT_PS4_PliijjS4_T0_.kd
    .uniform_work_group_size: 1
    .uses_dynamic_stack: false
    .vgpr_count:     28
    .vgpr_spill_count: 0
    .wavefront_size: 32
    .workgroup_processor_mode: 1
  - .args:
      - .address_space:  global
        .offset:         0
        .size:           8
        .value_kind:     global_buffer
      - .address_space:  global
        .offset:         8
        .size:           8
        .value_kind:     global_buffer
      - .address_space:  global
        .offset:         16
        .size:           8
        .value_kind:     global_buffer
      - .offset:         24
        .size:           4
        .value_kind:     by_value
      - .offset:         28
        .size:           4
        .value_kind:     by_value
      - .offset:         32
        .size:           4
        .value_kind:     by_value
      - .offset:         36
        .size:           1
        .value_kind:     by_value
      - .offset:         37
        .size:           1
        .value_kind:     by_value
      - .offset:         40
        .size:           4
        .value_kind:     hidden_block_count_x
      - .offset:         44
        .size:           4
        .value_kind:     hidden_block_count_y
      - .offset:         48
        .size:           4
        .value_kind:     hidden_block_count_z
      - .offset:         52
        .size:           2
        .value_kind:     hidden_group_size_x
      - .offset:         54
        .size:           2
        .value_kind:     hidden_group_size_y
      - .offset:         56
        .size:           2
        .value_kind:     hidden_group_size_z
      - .offset:         58
        .size:           2
        .value_kind:     hidden_remainder_x
      - .offset:         60
        .size:           2
        .value_kind:     hidden_remainder_y
      - .offset:         62
        .size:           2
        .value_kind:     hidden_remainder_z
      - .offset:         80
        .size:           8
        .value_kind:     hidden_global_offset_x
      - .offset:         88
        .size:           8
        .value_kind:     hidden_global_offset_y
      - .offset:         96
        .size:           8
        .value_kind:     hidden_global_offset_z
      - .offset:         104
        .size:           2
        .value_kind:     hidden_grid_dims
    .group_segment_fixed_size: 0
    .kernarg_segment_align: 8
    .kernarg_segment_size: 296
    .language:       OpenCL C
    .language_version:
      - 2
      - 0
    .max_flat_workgroup_size: 1024
    .name:           _ZN2at6native41tensor_kernel_scan_outer_dim_with_indicesIbSt10less_equalIbEEEvPKT_PS4_PljjjS4_T0_
    .private_segment_fixed_size: 0
    .sgpr_count:     32
    .sgpr_spill_count: 0
    .symbol:         _ZN2at6native41tensor_kernel_scan_outer_dim_with_indicesIbSt10less_equalIbEEEvPKT_PS4_PljjjS4_T0_.kd
    .uniform_work_group_size: 1
    .uses_dynamic_stack: false
    .vgpr_count:     13
    .vgpr_spill_count: 0
    .wavefront_size: 32
    .workgroup_processor_mode: 1
  - .args:
      - .address_space:  global
        .offset:         0
        .size:           8
        .value_kind:     global_buffer
      - .address_space:  global
        .offset:         8
        .size:           8
        .value_kind:     global_buffer
      - .address_space:  global
        .offset:         16
        .size:           8
        .value_kind:     global_buffer
      - .offset:         24
        .size:           4
        .value_kind:     by_value
      - .offset:         28
        .size:           4
        .value_kind:     by_value
      - .offset:         32
        .size:           4
        .value_kind:     by_value
      - .offset:         36
        .size:           4
        .value_kind:     by_value
      - .offset:         40
        .size:           2
        .value_kind:     by_value
      - .offset:         42
        .size:           1
        .value_kind:     by_value
      - .offset:         48
        .size:           4
        .value_kind:     hidden_block_count_x
      - .offset:         52
        .size:           4
        .value_kind:     hidden_block_count_y
      - .offset:         56
        .size:           4
        .value_kind:     hidden_block_count_z
      - .offset:         60
        .size:           2
        .value_kind:     hidden_group_size_x
      - .offset:         62
        .size:           2
        .value_kind:     hidden_group_size_y
      - .offset:         64
        .size:           2
        .value_kind:     hidden_group_size_z
      - .offset:         66
        .size:           2
        .value_kind:     hidden_remainder_x
      - .offset:         68
        .size:           2
        .value_kind:     hidden_remainder_y
      - .offset:         70
        .size:           2
        .value_kind:     hidden_remainder_z
      - .offset:         88
        .size:           8
        .value_kind:     hidden_global_offset_x
      - .offset:         96
        .size:           8
        .value_kind:     hidden_global_offset_y
      - .offset:         104
        .size:           8
        .value_kind:     hidden_global_offset_z
      - .offset:         112
        .size:           2
        .value_kind:     hidden_grid_dims
      - .offset:         168
        .size:           4
        .value_kind:     hidden_dynamic_lds_size
    .group_segment_fixed_size: 0
    .kernarg_segment_align: 8
    .kernarg_segment_size: 304
    .language:       OpenCL C
    .language_version:
      - 2
      - 0
    .max_flat_workgroup_size: 1024
    .name:           _ZN2at6native45tensor_kernel_scan_innermost_dim_with_indicesIN3c104HalfESt10less_equalIS3_EEEvPKT_PS6_PliijjS6_T0_
    .private_segment_fixed_size: 0
    .sgpr_count:     23
    .sgpr_spill_count: 0
    .symbol:         _ZN2at6native45tensor_kernel_scan_innermost_dim_with_indicesIN3c104HalfESt10less_equalIS3_EEEvPKT_PS6_PliijjS6_T0_.kd
    .uniform_work_group_size: 1
    .uses_dynamic_stack: false
    .vgpr_count:     25
    .vgpr_spill_count: 0
    .wavefront_size: 32
    .workgroup_processor_mode: 1
  - .args:
      - .address_space:  global
        .offset:         0
        .size:           8
        .value_kind:     global_buffer
      - .address_space:  global
        .offset:         8
        .size:           8
        .value_kind:     global_buffer
      - .address_space:  global
        .offset:         16
        .size:           8
        .value_kind:     global_buffer
      - .offset:         24
        .size:           4
        .value_kind:     by_value
      - .offset:         28
        .size:           4
        .value_kind:     by_value
      - .offset:         32
        .size:           4
        .value_kind:     by_value
      - .offset:         36
        .size:           2
        .value_kind:     by_value
      - .offset:         38
        .size:           1
        .value_kind:     by_value
      - .offset:         40
        .size:           4
        .value_kind:     hidden_block_count_x
      - .offset:         44
        .size:           4
        .value_kind:     hidden_block_count_y
      - .offset:         48
        .size:           4
        .value_kind:     hidden_block_count_z
      - .offset:         52
        .size:           2
        .value_kind:     hidden_group_size_x
      - .offset:         54
        .size:           2
        .value_kind:     hidden_group_size_y
      - .offset:         56
        .size:           2
        .value_kind:     hidden_group_size_z
      - .offset:         58
        .size:           2
        .value_kind:     hidden_remainder_x
      - .offset:         60
        .size:           2
        .value_kind:     hidden_remainder_y
      - .offset:         62
        .size:           2
        .value_kind:     hidden_remainder_z
      - .offset:         80
        .size:           8
        .value_kind:     hidden_global_offset_x
      - .offset:         88
        .size:           8
        .value_kind:     hidden_global_offset_y
      - .offset:         96
        .size:           8
        .value_kind:     hidden_global_offset_z
      - .offset:         104
        .size:           2
        .value_kind:     hidden_grid_dims
    .group_segment_fixed_size: 0
    .kernarg_segment_align: 8
    .kernarg_segment_size: 296
    .language:       OpenCL C
    .language_version:
      - 2
      - 0
    .max_flat_workgroup_size: 1024
    .name:           _ZN2at6native41tensor_kernel_scan_outer_dim_with_indicesIN3c104HalfESt10less_equalIS3_EEEvPKT_PS6_PljjjS6_T0_
    .private_segment_fixed_size: 0
    .sgpr_count:     37
    .sgpr_spill_count: 0
    .symbol:         _ZN2at6native41tensor_kernel_scan_outer_dim_with_indicesIN3c104HalfESt10less_equalIS3_EEEvPKT_PS6_PljjjS6_T0_.kd
    .uniform_work_group_size: 1
    .uses_dynamic_stack: false
    .vgpr_count:     13
    .vgpr_spill_count: 0
    .wavefront_size: 32
    .workgroup_processor_mode: 1
  - .args:
      - .address_space:  global
        .offset:         0
        .size:           8
        .value_kind:     global_buffer
      - .address_space:  global
        .offset:         8
        .size:           8
        .value_kind:     global_buffer
      - .address_space:  global
        .offset:         16
        .size:           8
        .value_kind:     global_buffer
      - .offset:         24
        .size:           4
        .value_kind:     by_value
      - .offset:         28
        .size:           4
        .value_kind:     by_value
      - .offset:         32
        .size:           4
        .value_kind:     by_value
      - .offset:         36
        .size:           4
        .value_kind:     by_value
      - .offset:         40
        .size:           2
        .value_kind:     by_value
      - .offset:         42
        .size:           1
        .value_kind:     by_value
      - .offset:         48
        .size:           4
        .value_kind:     hidden_block_count_x
      - .offset:         52
        .size:           4
        .value_kind:     hidden_block_count_y
      - .offset:         56
        .size:           4
        .value_kind:     hidden_block_count_z
      - .offset:         60
        .size:           2
        .value_kind:     hidden_group_size_x
      - .offset:         62
        .size:           2
        .value_kind:     hidden_group_size_y
      - .offset:         64
        .size:           2
        .value_kind:     hidden_group_size_z
      - .offset:         66
        .size:           2
        .value_kind:     hidden_remainder_x
      - .offset:         68
        .size:           2
        .value_kind:     hidden_remainder_y
      - .offset:         70
        .size:           2
        .value_kind:     hidden_remainder_z
      - .offset:         88
        .size:           8
        .value_kind:     hidden_global_offset_x
      - .offset:         96
        .size:           8
        .value_kind:     hidden_global_offset_y
      - .offset:         104
        .size:           8
        .value_kind:     hidden_global_offset_z
      - .offset:         112
        .size:           2
        .value_kind:     hidden_grid_dims
      - .offset:         168
        .size:           4
        .value_kind:     hidden_dynamic_lds_size
    .group_segment_fixed_size: 0
    .kernarg_segment_align: 8
    .kernarg_segment_size: 304
    .language:       OpenCL C
    .language_version:
      - 2
      - 0
    .max_flat_workgroup_size: 1024
    .name:           _ZN2at6native45tensor_kernel_scan_innermost_dim_with_indicesIN3c108BFloat16ESt10less_equalIS3_EEEvPKT_PS6_PliijjS6_T0_
    .private_segment_fixed_size: 0
    .sgpr_count:     23
    .sgpr_spill_count: 0
    .symbol:         _ZN2at6native45tensor_kernel_scan_innermost_dim_with_indicesIN3c108BFloat16ESt10less_equalIS3_EEEvPKT_PS6_PliijjS6_T0_.kd
    .uniform_work_group_size: 1
    .uses_dynamic_stack: false
    .vgpr_count:     25
    .vgpr_spill_count: 0
    .wavefront_size: 32
    .workgroup_processor_mode: 1
  - .args:
      - .address_space:  global
        .offset:         0
        .size:           8
        .value_kind:     global_buffer
      - .address_space:  global
        .offset:         8
        .size:           8
        .value_kind:     global_buffer
      - .address_space:  global
        .offset:         16
        .size:           8
        .value_kind:     global_buffer
      - .offset:         24
        .size:           4
        .value_kind:     by_value
      - .offset:         28
        .size:           4
        .value_kind:     by_value
      - .offset:         32
        .size:           4
        .value_kind:     by_value
      - .offset:         36
        .size:           2
        .value_kind:     by_value
      - .offset:         38
        .size:           1
        .value_kind:     by_value
      - .offset:         40
        .size:           4
        .value_kind:     hidden_block_count_x
      - .offset:         44
        .size:           4
        .value_kind:     hidden_block_count_y
      - .offset:         48
        .size:           4
        .value_kind:     hidden_block_count_z
      - .offset:         52
        .size:           2
        .value_kind:     hidden_group_size_x
      - .offset:         54
        .size:           2
        .value_kind:     hidden_group_size_y
      - .offset:         56
        .size:           2
        .value_kind:     hidden_group_size_z
      - .offset:         58
        .size:           2
        .value_kind:     hidden_remainder_x
      - .offset:         60
        .size:           2
        .value_kind:     hidden_remainder_y
      - .offset:         62
        .size:           2
        .value_kind:     hidden_remainder_z
      - .offset:         80
        .size:           8
        .value_kind:     hidden_global_offset_x
      - .offset:         88
        .size:           8
        .value_kind:     hidden_global_offset_y
      - .offset:         96
        .size:           8
        .value_kind:     hidden_global_offset_z
      - .offset:         104
        .size:           2
        .value_kind:     hidden_grid_dims
    .group_segment_fixed_size: 0
    .kernarg_segment_align: 8
    .kernarg_segment_size: 296
    .language:       OpenCL C
    .language_version:
      - 2
      - 0
    .max_flat_workgroup_size: 1024
    .name:           _ZN2at6native41tensor_kernel_scan_outer_dim_with_indicesIN3c108BFloat16ESt10less_equalIS3_EEEvPKT_PS6_PljjjS6_T0_
    .private_segment_fixed_size: 0
    .sgpr_count:     39
    .sgpr_spill_count: 0
    .symbol:         _ZN2at6native41tensor_kernel_scan_outer_dim_with_indicesIN3c108BFloat16ESt10less_equalIS3_EEEvPKT_PS6_PljjjS6_T0_.kd
    .uniform_work_group_size: 1
    .uses_dynamic_stack: false
    .vgpr_count:     13
    .vgpr_spill_count: 0
    .wavefront_size: 32
    .workgroup_processor_mode: 1
amdhsa.target:   amdgcn-amd-amdhsa--gfx1030
amdhsa.version:
  - 1
  - 2
...

	.end_amdgpu_metadata
